;; amdgpu-corpus repo=ROCm/rocFFT kind=compiled arch=gfx906 opt=O3
	.text
	.amdgcn_target "amdgcn-amd-amdhsa--gfx906"
	.amdhsa_code_object_version 6
	.protected	fft_rtc_back_len1890_factors_2_3_3_3_7_5_wgs_126_tpt_126_halfLds_sp_ip_CI_unitstride_sbrr_dirReg ; -- Begin function fft_rtc_back_len1890_factors_2_3_3_3_7_5_wgs_126_tpt_126_halfLds_sp_ip_CI_unitstride_sbrr_dirReg
	.globl	fft_rtc_back_len1890_factors_2_3_3_3_7_5_wgs_126_tpt_126_halfLds_sp_ip_CI_unitstride_sbrr_dirReg
	.p2align	8
	.type	fft_rtc_back_len1890_factors_2_3_3_3_7_5_wgs_126_tpt_126_halfLds_sp_ip_CI_unitstride_sbrr_dirReg,@function
fft_rtc_back_len1890_factors_2_3_3_3_7_5_wgs_126_tpt_126_halfLds_sp_ip_CI_unitstride_sbrr_dirReg: ; @fft_rtc_back_len1890_factors_2_3_3_3_7_5_wgs_126_tpt_126_halfLds_sp_ip_CI_unitstride_sbrr_dirReg
; %bb.0:
	s_load_dwordx2 s[2:3], s[4:5], 0x50
	s_load_dwordx4 s[8:11], s[4:5], 0x0
	s_load_dwordx2 s[12:13], s[4:5], 0x18
	v_mul_u32_u24_e32 v1, 0x209, v0
	v_add_u32_sdwa v5, s6, v1 dst_sel:DWORD dst_unused:UNUSED_PAD src0_sel:DWORD src1_sel:WORD_1
	v_mov_b32_e32 v3, 0
	s_waitcnt lgkmcnt(0)
	v_cmp_lt_u64_e64 s[0:1], s[10:11], 2
	v_mov_b32_e32 v1, 0
	v_mov_b32_e32 v6, v3
	s_and_b64 vcc, exec, s[0:1]
	v_mov_b32_e32 v2, 0
	s_cbranch_vccnz .LBB0_8
; %bb.1:
	s_load_dwordx2 s[0:1], s[4:5], 0x10
	s_add_u32 s6, s12, 8
	s_addc_u32 s7, s13, 0
	v_mov_b32_e32 v1, 0
	v_mov_b32_e32 v2, 0
	s_waitcnt lgkmcnt(0)
	s_add_u32 s14, s0, 8
	s_addc_u32 s15, s1, 0
	s_mov_b64 s[16:17], 1
.LBB0_2:                                ; =>This Inner Loop Header: Depth=1
	s_load_dwordx2 s[18:19], s[14:15], 0x0
                                        ; implicit-def: $vgpr7_vgpr8
	s_waitcnt lgkmcnt(0)
	v_or_b32_e32 v4, s19, v6
	v_cmp_ne_u64_e32 vcc, 0, v[3:4]
	s_and_saveexec_b64 s[0:1], vcc
	s_xor_b64 s[20:21], exec, s[0:1]
	s_cbranch_execz .LBB0_4
; %bb.3:                                ;   in Loop: Header=BB0_2 Depth=1
	v_cvt_f32_u32_e32 v4, s18
	v_cvt_f32_u32_e32 v7, s19
	s_sub_u32 s0, 0, s18
	s_subb_u32 s1, 0, s19
	v_mac_f32_e32 v4, 0x4f800000, v7
	v_rcp_f32_e32 v4, v4
	v_mul_f32_e32 v4, 0x5f7ffffc, v4
	v_mul_f32_e32 v7, 0x2f800000, v4
	v_trunc_f32_e32 v7, v7
	v_mac_f32_e32 v4, 0xcf800000, v7
	v_cvt_u32_f32_e32 v7, v7
	v_cvt_u32_f32_e32 v4, v4
	v_mul_lo_u32 v8, s0, v7
	v_mul_hi_u32 v9, s0, v4
	v_mul_lo_u32 v11, s1, v4
	v_mul_lo_u32 v10, s0, v4
	v_add_u32_e32 v8, v9, v8
	v_add_u32_e32 v8, v8, v11
	v_mul_hi_u32 v9, v4, v10
	v_mul_lo_u32 v11, v4, v8
	v_mul_hi_u32 v13, v4, v8
	v_mul_hi_u32 v12, v7, v10
	v_mul_lo_u32 v10, v7, v10
	v_mul_hi_u32 v14, v7, v8
	v_add_co_u32_e32 v9, vcc, v9, v11
	v_addc_co_u32_e32 v11, vcc, 0, v13, vcc
	v_mul_lo_u32 v8, v7, v8
	v_add_co_u32_e32 v9, vcc, v9, v10
	v_addc_co_u32_e32 v9, vcc, v11, v12, vcc
	v_addc_co_u32_e32 v10, vcc, 0, v14, vcc
	v_add_co_u32_e32 v8, vcc, v9, v8
	v_addc_co_u32_e32 v9, vcc, 0, v10, vcc
	v_add_co_u32_e32 v4, vcc, v4, v8
	v_addc_co_u32_e32 v7, vcc, v7, v9, vcc
	v_mul_lo_u32 v8, s0, v7
	v_mul_hi_u32 v9, s0, v4
	v_mul_lo_u32 v10, s1, v4
	v_mul_lo_u32 v11, s0, v4
	v_add_u32_e32 v8, v9, v8
	v_add_u32_e32 v8, v8, v10
	v_mul_lo_u32 v12, v4, v8
	v_mul_hi_u32 v13, v4, v11
	v_mul_hi_u32 v14, v4, v8
	;; [unrolled: 1-line block ×3, first 2 shown]
	v_mul_lo_u32 v11, v7, v11
	v_mul_hi_u32 v9, v7, v8
	v_add_co_u32_e32 v12, vcc, v13, v12
	v_addc_co_u32_e32 v13, vcc, 0, v14, vcc
	v_mul_lo_u32 v8, v7, v8
	v_add_co_u32_e32 v11, vcc, v12, v11
	v_addc_co_u32_e32 v10, vcc, v13, v10, vcc
	v_addc_co_u32_e32 v9, vcc, 0, v9, vcc
	v_add_co_u32_e32 v8, vcc, v10, v8
	v_addc_co_u32_e32 v9, vcc, 0, v9, vcc
	v_add_co_u32_e32 v4, vcc, v4, v8
	v_addc_co_u32_e32 v9, vcc, v7, v9, vcc
	v_mad_u64_u32 v[7:8], s[0:1], v5, v9, 0
	v_mul_hi_u32 v10, v5, v4
	v_add_co_u32_e32 v11, vcc, v10, v7
	v_addc_co_u32_e32 v12, vcc, 0, v8, vcc
	v_mad_u64_u32 v[7:8], s[0:1], v6, v4, 0
	v_mad_u64_u32 v[9:10], s[0:1], v6, v9, 0
	v_add_co_u32_e32 v4, vcc, v11, v7
	v_addc_co_u32_e32 v4, vcc, v12, v8, vcc
	v_addc_co_u32_e32 v7, vcc, 0, v10, vcc
	v_add_co_u32_e32 v4, vcc, v4, v9
	v_addc_co_u32_e32 v9, vcc, 0, v7, vcc
	v_mul_lo_u32 v10, s19, v4
	v_mul_lo_u32 v11, s18, v9
	v_mad_u64_u32 v[7:8], s[0:1], s18, v4, 0
	v_add3_u32 v8, v8, v11, v10
	v_sub_u32_e32 v10, v6, v8
	v_mov_b32_e32 v11, s19
	v_sub_co_u32_e32 v7, vcc, v5, v7
	v_subb_co_u32_e64 v10, s[0:1], v10, v11, vcc
	v_subrev_co_u32_e64 v11, s[0:1], s18, v7
	v_subbrev_co_u32_e64 v10, s[0:1], 0, v10, s[0:1]
	v_cmp_le_u32_e64 s[0:1], s19, v10
	v_cndmask_b32_e64 v12, 0, -1, s[0:1]
	v_cmp_le_u32_e64 s[0:1], s18, v11
	v_cndmask_b32_e64 v11, 0, -1, s[0:1]
	v_cmp_eq_u32_e64 s[0:1], s19, v10
	v_cndmask_b32_e64 v10, v12, v11, s[0:1]
	v_add_co_u32_e64 v11, s[0:1], 2, v4
	v_addc_co_u32_e64 v12, s[0:1], 0, v9, s[0:1]
	v_add_co_u32_e64 v13, s[0:1], 1, v4
	v_addc_co_u32_e64 v14, s[0:1], 0, v9, s[0:1]
	v_subb_co_u32_e32 v8, vcc, v6, v8, vcc
	v_cmp_ne_u32_e64 s[0:1], 0, v10
	v_cmp_le_u32_e32 vcc, s19, v8
	v_cndmask_b32_e64 v10, v14, v12, s[0:1]
	v_cndmask_b32_e64 v12, 0, -1, vcc
	v_cmp_le_u32_e32 vcc, s18, v7
	v_cndmask_b32_e64 v7, 0, -1, vcc
	v_cmp_eq_u32_e32 vcc, s19, v8
	v_cndmask_b32_e32 v7, v12, v7, vcc
	v_cmp_ne_u32_e32 vcc, 0, v7
	v_cndmask_b32_e64 v7, v13, v11, s[0:1]
	v_cndmask_b32_e32 v8, v9, v10, vcc
	v_cndmask_b32_e32 v7, v4, v7, vcc
.LBB0_4:                                ;   in Loop: Header=BB0_2 Depth=1
	s_andn2_saveexec_b64 s[0:1], s[20:21]
	s_cbranch_execz .LBB0_6
; %bb.5:                                ;   in Loop: Header=BB0_2 Depth=1
	v_cvt_f32_u32_e32 v4, s18
	s_sub_i32 s20, 0, s18
	v_rcp_iflag_f32_e32 v4, v4
	v_mul_f32_e32 v4, 0x4f7ffffe, v4
	v_cvt_u32_f32_e32 v4, v4
	v_mul_lo_u32 v7, s20, v4
	v_mul_hi_u32 v7, v4, v7
	v_add_u32_e32 v4, v4, v7
	v_mul_hi_u32 v4, v5, v4
	v_mul_lo_u32 v7, v4, s18
	v_add_u32_e32 v8, 1, v4
	v_sub_u32_e32 v7, v5, v7
	v_subrev_u32_e32 v9, s18, v7
	v_cmp_le_u32_e32 vcc, s18, v7
	v_cndmask_b32_e32 v7, v7, v9, vcc
	v_cndmask_b32_e32 v4, v4, v8, vcc
	v_add_u32_e32 v8, 1, v4
	v_cmp_le_u32_e32 vcc, s18, v7
	v_cndmask_b32_e32 v7, v4, v8, vcc
	v_mov_b32_e32 v8, v3
.LBB0_6:                                ;   in Loop: Header=BB0_2 Depth=1
	s_or_b64 exec, exec, s[0:1]
	v_mul_lo_u32 v4, v8, s18
	v_mul_lo_u32 v11, v7, s19
	v_mad_u64_u32 v[9:10], s[0:1], v7, s18, 0
	s_load_dwordx2 s[0:1], s[6:7], 0x0
	s_add_u32 s16, s16, 1
	v_add3_u32 v4, v10, v11, v4
	v_sub_co_u32_e32 v5, vcc, v5, v9
	v_subb_co_u32_e32 v4, vcc, v6, v4, vcc
	s_waitcnt lgkmcnt(0)
	v_mul_lo_u32 v4, s0, v4
	v_mul_lo_u32 v6, s1, v5
	v_mad_u64_u32 v[1:2], s[0:1], s0, v5, v[1:2]
	s_addc_u32 s17, s17, 0
	s_add_u32 s6, s6, 8
	v_add3_u32 v2, v6, v2, v4
	v_mov_b32_e32 v4, s10
	v_mov_b32_e32 v5, s11
	s_addc_u32 s7, s7, 0
	v_cmp_ge_u64_e32 vcc, s[16:17], v[4:5]
	s_add_u32 s14, s14, 8
	s_addc_u32 s15, s15, 0
	s_cbranch_vccnz .LBB0_9
; %bb.7:                                ;   in Loop: Header=BB0_2 Depth=1
	v_mov_b32_e32 v5, v7
	v_mov_b32_e32 v6, v8
	s_branch .LBB0_2
.LBB0_8:
	v_mov_b32_e32 v8, v6
	v_mov_b32_e32 v7, v5
.LBB0_9:
	s_lshl_b64 s[0:1], s[10:11], 3
	s_add_u32 s0, s12, s0
	s_addc_u32 s1, s13, s1
	s_load_dwordx2 s[6:7], s[0:1], 0x0
	s_load_dwordx2 s[10:11], s[4:5], 0x20
	v_mov_b32_e32 v16, 0
                                        ; implicit-def: $vgpr18
                                        ; implicit-def: $vgpr31
                                        ; implicit-def: $vgpr27
                                        ; implicit-def: $vgpr25
                                        ; implicit-def: $vgpr12
                                        ; implicit-def: $vgpr6
                                        ; implicit-def: $vgpr14
                                        ; implicit-def: $vgpr10
                                        ; implicit-def: $vgpr23
                                        ; implicit-def: $vgpr21
                                        ; implicit-def: $vgpr37
                                        ; implicit-def: $vgpr29
                                        ; implicit-def: $vgpr33
                                        ; implicit-def: $vgpr35
	s_waitcnt lgkmcnt(0)
	v_mad_u64_u32 v[1:2], s[0:1], s6, v7, v[1:2]
	s_mov_b32 s0, 0x2082083
	v_mul_lo_u32 v3, s6, v8
	v_mul_lo_u32 v4, s7, v7
	v_mul_hi_u32 v5, v0, s0
	v_cmp_gt_u64_e64 s[0:1], s[10:11], v[7:8]
                                        ; implicit-def: $vgpr8
	v_add3_u32 v2, v4, v2, v3
	v_mul_u32_u24_e32 v3, 0x7e, v5
	v_sub_u32_e32 v0, v0, v3
	v_lshlrev_b64 v[2:3], 3, v[1:2]
	v_mov_b32_e32 v1, 0
	s_and_saveexec_b64 s[4:5], s[0:1]
	s_cbranch_execz .LBB0_13
; %bb.10:
	v_mov_b32_e32 v1, 0
	v_mov_b32_e32 v4, s3
	v_add_co_u32_e32 v6, vcc, s2, v2
	v_addc_co_u32_e32 v7, vcc, v4, v3, vcc
	v_lshlrev_b64 v[4:5], 3, v[0:1]
                                        ; implicit-def: $vgpr36
	v_add_co_u32_e32 v37, vcc, v6, v4
	v_addc_co_u32_e32 v38, vcc, v7, v5, vcc
	v_add_co_u32_e32 v15, vcc, 0x1000, v37
	v_addc_co_u32_e32 v16, vcc, 0, v38, vcc
	;; [unrolled: 2-line block ×3, first 2 shown]
	v_add_co_u32_e32 v39, vcc, 0x3000, v37
	global_load_dwordx2 v[34:35], v[7:8], off offset:376
	global_load_dwordx2 v[32:33], v[7:8], off offset:1384
	;; [unrolled: 1-line block ×6, first 2 shown]
	v_addc_co_u32_e32 v40, vcc, 0, v38, vcc
	global_load_dwordx2 v[7:8], v[15:16], off offset:3464
	global_load_dwordx2 v[20:21], v[15:16], off offset:1952
	;; [unrolled: 1-line block ×4, first 2 shown]
	global_load_dwordx2 v[17:18], v[37:38], off
	global_load_dwordx2 v[30:31], v[37:38], off offset:1008
	global_load_dwordx2 v[26:27], v[37:38], off offset:2016
	;; [unrolled: 1-line block ×3, first 2 shown]
	v_cmp_gt_u32_e32 vcc, 63, v0
	v_mov_b32_e32 v16, v1
	s_and_saveexec_b64 s[6:7], vcc
	s_cbranch_execz .LBB0_12
; %bb.11:
	v_add_co_u32_e32 v39, vcc, 0x1000, v37
	v_addc_co_u32_e32 v40, vcc, 0, v38, vcc
	v_add_co_u32_e32 v41, vcc, 0x3000, v37
	v_addc_co_u32_e32 v42, vcc, 0, v38, vcc
	global_load_dwordx2 v[15:16], v[39:40], off offset:2960
	global_load_dwordx2 v[36:37], v[41:42], off offset:2328
	s_waitcnt vmcnt(1)
	v_mov_b32_e32 v1, v15
.LBB0_12:
	s_or_b64 exec, exec, s[6:7]
.LBB0_13:
	s_or_b64 exec, exec, s[4:5]
	s_waitcnt vmcnt(4)
	v_sub_f32_e32 v41, v20, v28
	v_fma_f32 v40, v20, 2.0, -v41
	s_waitcnt vmcnt(3)
	v_sub_f32_e32 v20, v17, v7
	v_lshl_add_u32 v48, v0, 3, 0
	v_fma_f32 v19, v17, 2.0, -v20
	ds_write_b64 v48, v[19:20]
	s_waitcnt vmcnt(2)
	v_sub_f32_e32 v20, v30, v34
	v_add_u32_e32 v46, 0x7e, v0
	v_fma_f32 v19, v30, 2.0, -v20
	v_lshl_add_u32 v7, v46, 3, 0
	ds_write_b64 v7, v[19:20]
	s_waitcnt vmcnt(1)
	v_sub_f32_e32 v20, v26, v32
	v_add_u32_e32 v47, 0xfc, v0
	v_fma_f32 v19, v26, 2.0, -v20
	v_lshl_add_u32 v50, v47, 3, 0
	v_sub_f32_e32 v39, v9, v22
	ds_write_b64 v50, v[19:20]
	s_waitcnt vmcnt(0)
	v_sub_f32_e32 v20, v24, v11
	v_add_u32_e32 v22, 0x17a, v0
	v_fma_f32 v38, v9, 2.0, -v39
	v_add_u32_e32 v4, 0x1000, v48
	v_fma_f32 v19, v24, 2.0, -v20
	v_lshl_add_u32 v51, v22, 3, 0
	ds_write2_b64 v4, v[38:39], v[40:41] offset0:118 offset1:244
	ds_write_b64 v51, v[19:20]
	v_sub_f32_e32 v20, v5, v13
	v_add_u32_e32 v11, 0x1f8, v0
	v_add_u32_e32 v4, 0x372, v0
	v_fma_f32 v19, v5, 2.0, -v20
	v_lshl_add_u32 v52, v11, 3, 0
	v_cmp_gt_u32_e32 vcc, 63, v0
	v_lshl_add_u32 v32, v4, 3, 0
	v_add_u32_e32 v49, 0x13b0, v48
	v_add_u32_e32 v34, 0x17a0, v48
	v_sub_f32_e32 v5, v1, v36
	ds_write_b64 v52, v[19:20]
	s_and_saveexec_b64 s[4:5], vcc
	s_cbranch_execz .LBB0_15
; %bb.14:
	v_fma_f32 v4, v1, 2.0, -v5
	ds_write_b64 v32, v[4:5]
.LBB0_15:
	s_or_b64 exec, exec, s[4:5]
	v_sub_f32_e32 v54, v18, v8
	v_lshl_add_u32 v1, v0, 2, 0
	v_fma_f32 v53, v18, 2.0, -v54
	s_waitcnt lgkmcnt(0)
	s_barrier
	v_add_u32_e32 v24, 0x600, v1
	v_add_u32_e32 v26, 0x1200, v1
	;; [unrolled: 1-line block ×6, first 2 shown]
	ds_read_b32 v30, v1 offset:7056
	ds_read2_b32 v[19:20], v1 offset1:126
	ds_read2_b32 v[8:9], v24 offset0:120 offset1:246
	ds_read2_b32 v[44:45], v26 offset0:108 offset1:234
	;; [unrolled: 1-line block ×6, first 2 shown]
	v_sub_f32_e32 v36, v31, v35
	v_fma_f32 v35, v31, 2.0, -v36
	s_waitcnt lgkmcnt(0)
	s_barrier
	ds_write_b64 v7, v[35:36]
	v_sub_f32_e32 v36, v27, v33
	v_fma_f32 v35, v27, 2.0, -v36
	ds_write_b64 v50, v[35:36]
	v_sub_f32_e32 v36, v25, v12
	v_fma_f32 v35, v25, 2.0, -v36
	v_sub_f32_e32 v7, v6, v14
	ds_write_b64 v51, v[35:36]
	v_fma_f32 v6, v6, 2.0, -v7
	v_sub_f32_e32 v36, v10, v23
	ds_write_b64 v52, v[6:7]
	v_fma_f32 v35, v10, 2.0, -v36
	v_sub_f32_e32 v51, v21, v29
	v_sub_f32_e32 v7, v16, v37
	ds_write_b64 v48, v[53:54]
	v_fma_f32 v50, v21, 2.0, -v51
	ds_write_b64 v49, v[35:36]
	ds_write_b64 v34, v[50:51]
	s_and_saveexec_b64 s[4:5], vcc
	s_cbranch_execz .LBB0_17
; %bb.16:
	v_fma_f32 v6, v16, 2.0, -v7
	ds_write_b64 v32, v[6:7]
.LBB0_17:
	s_or_b64 exec, exec, s[4:5]
	v_and_b32_e32 v6, 1, v0
	v_lshlrev_b32_e32 v10, 4, v6
	s_waitcnt lgkmcnt(0)
	s_barrier
	global_load_dwordx4 v[31:34], v10, s[8:9]
	ds_read2_b32 v[35:36], v1 offset1:126
	ds_read2_b32 v[48:49], v24 offset0:120 offset1:246
	ds_read2_b32 v[50:51], v26 offset0:108 offset1:234
	;; [unrolled: 1-line block ×6, first 2 shown]
	ds_read_b32 v10, v1 offset:7056
	s_waitcnt vmcnt(0) lgkmcnt(0)
	s_barrier
	s_mov_b32 s4, 0xaaab
	v_cmp_gt_u32_e32 vcc, 18, v0
	v_mul_f32_e32 v12, v49, v32
	v_mul_f32_e32 v14, v9, v32
	;; [unrolled: 1-line block ×20, first 2 shown]
	v_fmac_f32_e32 v16, v44, v33
	v_fma_f32 v21, v50, v33, -v21
	v_fmac_f32_e32 v12, v9, v31
	v_fma_f32 v9, v49, v31, -v14
	;; [unrolled: 2-line block ×3, first 2 shown]
	v_fmac_f32_e32 v27, v42, v31
	v_fmac_f32_e32 v37, v43, v31
	v_fma_f32 v29, v52, v31, -v29
	v_fma_f32 v42, v53, v31, -v60
	v_fmac_f32_e32 v61, v40, v33
	v_fmac_f32_e32 v63, v41, v33
	v_fma_f32 v40, v56, v33, -v62
	v_fma_f32 v41, v57, v33, -v64
	;; [unrolled: 4-line block ×3, first 2 shown]
	v_fmac_f32_e32 v68, v30, v33
	v_fma_f32 v10, v10, v33, -v34
	v_add_f32_e32 v30, v12, v16
	v_sub_f32_e32 v31, v9, v21
	v_add_f32_e32 v33, v35, v9
	v_add_f32_e32 v9, v9, v21
	;; [unrolled: 1-line block ×3, first 2 shown]
	v_sub_f32_e32 v43, v29, v25
	v_add_f32_e32 v44, v36, v29
	v_add_f32_e32 v29, v29, v25
	v_fma_f32 v19, -0.5, v30, v19
	v_fma_f32 v30, -0.5, v9, v35
	v_sub_f32_e32 v12, v12, v16
	v_fmac_f32_e32 v36, -0.5, v29
	v_mov_b32_e32 v29, v30
	v_add_f32_e32 v34, v20, v27
	v_fmac_f32_e32 v30, 0xbf5db3d7, v12
	v_fmac_f32_e32 v29, 0x3f5db3d7, v12
	v_add_f32_e32 v12, v37, v61
	v_add_f32_e32 v39, v27, v23
	v_sub_f32_e32 v27, v27, v23
	v_add_f32_e32 v9, v34, v23
	v_add_f32_e32 v23, v44, v25
	v_mov_b32_e32 v25, v19
	v_mov_b32_e32 v34, v36
	v_fma_f32 v12, -0.5, v12, v17
	v_add_f32_e32 v45, v17, v37
	v_fmac_f32_e32 v19, 0x3f5db3d7, v31
	v_fmac_f32_e32 v36, 0xbf5db3d7, v27
	;; [unrolled: 1-line block ×4, first 2 shown]
	v_sub_f32_e32 v17, v42, v40
	v_mov_b32_e32 v27, v12
	v_add_f32_e32 v31, v42, v40
	v_fmac_f32_e32 v27, 0xbf5db3d7, v17
	v_fmac_f32_e32 v12, 0x3f5db3d7, v17
	v_add_f32_e32 v17, v54, v42
	v_fma_f32 v31, -0.5, v31, v54
	v_add_f32_e32 v17, v17, v40
	v_sub_f32_e32 v35, v37, v61
	v_mov_b32_e32 v40, v31
	v_add_f32_e32 v37, v65, v63
	v_fmac_f32_e32 v40, 0x3f5db3d7, v35
	v_fmac_f32_e32 v31, 0xbf5db3d7, v35
	v_add_f32_e32 v35, v18, v65
	v_fmac_f32_e32 v18, -0.5, v37
	v_fmac_f32_e32 v20, -0.5, v39
	v_sub_f32_e32 v37, v38, v41
	v_mov_b32_e32 v42, v18
	v_add_f32_e32 v14, v14, v16
	v_add_f32_e32 v16, v33, v21
	v_mov_b32_e32 v33, v20
	v_fmac_f32_e32 v42, 0xbf5db3d7, v37
	v_fmac_f32_e32 v18, 0x3f5db3d7, v37
	v_add_f32_e32 v37, v55, v38
	v_fmac_f32_e32 v20, 0x3f5db3d7, v43
	v_fmac_f32_e32 v33, 0xbf5db3d7, v43
	v_add_f32_e32 v43, v37, v41
	v_add_f32_e32 v37, v38, v41
	v_fmac_f32_e32 v55, -0.5, v37
	v_sub_f32_e32 v37, v65, v63
	v_mov_b32_e32 v41, v55
	v_add_f32_e32 v38, v67, v68
	v_fmac_f32_e32 v41, 0x3f5db3d7, v37
	v_fmac_f32_e32 v55, 0xbf5db3d7, v37
	v_add_f32_e32 v37, v8, v67
	v_fmac_f32_e32 v8, -0.5, v38
	v_sub_f32_e32 v38, v32, v10
	v_mov_b32_e32 v44, v8
	v_fmac_f32_e32 v44, 0xbf5db3d7, v38
	v_fmac_f32_e32 v8, 0x3f5db3d7, v38
	v_add_f32_e32 v38, v48, v32
	v_add_f32_e32 v49, v38, v10
	;; [unrolled: 1-line block ×3, first 2 shown]
	v_fmac_f32_e32 v48, -0.5, v10
	v_sub_f32_e32 v10, v67, v68
	v_mov_b32_e32 v32, v48
	v_fmac_f32_e32 v32, 0x3f5db3d7, v10
	v_fmac_f32_e32 v48, 0xbf5db3d7, v10
	v_lshrrev_b32_e32 v10, 1, v0
	v_mul_u32_u24_e32 v10, 6, v10
	v_or_b32_e32 v10, v10, v6
	v_lshl_add_u32 v10, v10, 2, 0
	ds_write2_b32 v10, v14, v25 offset1:2
	ds_write_b32 v10, v19 offset:16
	v_lshrrev_b32_e32 v14, 1, v46
	v_mul_u32_u24_e32 v14, 6, v14
	v_or_b32_e32 v14, v14, v6
	v_lshl_add_u32 v14, v14, 2, 0
	v_lshrrev_b32_e32 v39, 1, v47
	ds_write2_b32 v14, v9, v33 offset1:2
	ds_write_b32 v14, v20 offset:16
	v_mul_u32_u24_e32 v9, 6, v39
	v_or_b32_e32 v9, v9, v6
	v_lshl_add_u32 v19, v9, 2, 0
	v_lshrrev_b32_e32 v9, 1, v22
	v_mul_u32_u24_e32 v9, 6, v9
	v_add_f32_e32 v21, v45, v61
	v_or_b32_e32 v9, v9, v6
	ds_write2_b32 v19, v21, v27 offset1:2
	ds_write_b32 v19, v12 offset:16
	v_lshl_add_u32 v12, v9, 2, 0
	v_lshrrev_b32_e32 v9, 1, v11
	v_mul_u32_u24_e32 v9, 6, v9
	v_or_b32_e32 v6, v9, v6
	v_add_f32_e32 v35, v35, v63
	v_add_f32_e32 v37, v37, v68
	v_lshl_add_u32 v6, v6, 2, 0
	ds_write2_b32 v12, v35, v42 offset1:2
	ds_write_b32 v12, v18 offset:16
	ds_write2_b32 v6, v37, v44 offset1:2
	ds_write_b32 v6, v8 offset:16
	s_waitcnt lgkmcnt(0)
	s_barrier
	ds_read2_b32 v[8:9], v1 offset1:126
	ds_read2_b32 v[20:21], v24 offset0:120 offset1:246
	ds_read2_b32 v[37:38], v26 offset0:108 offset1:234
	ds_read2_b32 v[44:45], v28 offset0:116 offset1:242
	ds_read2_b32 v[52:53], v4 offset0:124 offset1:250
	ds_read2_b32 v[56:57], v15 offset0:104 offset1:230
	ds_read2_b32 v[58:59], v13 offset0:112 offset1:238
	ds_read_b32 v25, v1 offset:7056
	s_waitcnt lgkmcnt(0)
	s_barrier
	ds_write2_b32 v10, v16, v29 offset1:2
	ds_write_b32 v10, v30 offset:16
	ds_write2_b32 v14, v23, v34 offset1:2
	ds_write_b32 v14, v36 offset:16
	;; [unrolled: 2-line block ×5, first 2 shown]
	v_mul_u32_u24_sdwa v6, v47, s4 dst_sel:DWORD dst_unused:UNUSED_PAD src0_sel:WORD_0 src1_sel:DWORD
	v_lshrrev_b32_e32 v6, 18, v6
	v_mul_lo_u16_e32 v10, 6, v6
	v_sub_u16_e32 v10, v47, v10
	v_lshlrev_b32_e32 v12, 4, v10
	s_waitcnt lgkmcnt(0)
	s_barrier
	global_load_dwordx4 v[16:19], v12, s[8:9] offset:32
	v_mul_u32_u24_sdwa v12, v22, s4 dst_sel:DWORD dst_unused:UNUSED_PAD src0_sel:WORD_0 src1_sel:DWORD
	v_lshrrev_b32_e32 v12, 18, v12
	v_mul_lo_u16_e32 v14, 6, v12
	v_sub_u16_e32 v14, v22, v14
	v_lshlrev_b32_e32 v23, 4, v14
	global_load_dwordx4 v[29:32], v23, s[8:9] offset:32
	v_mul_u32_u24_sdwa v23, v11, s4 dst_sel:DWORD dst_unused:UNUSED_PAD src0_sel:WORD_0 src1_sel:DWORD
	v_lshrrev_b32_e32 v23, 18, v23
	v_mul_lo_u16_e32 v27, 6, v23
	v_sub_u16_e32 v27, v11, v27
	v_lshlrev_b32_e32 v33, 4, v27
	global_load_dwordx4 v[33:36], v33, s[8:9] offset:32
	s_movk_i32 s4, 0xab
	v_mul_lo_u16_sdwa v40, v46, s4 dst_sel:DWORD dst_unused:UNUSED_PAD src0_sel:BYTE_0 src1_sel:DWORD
	v_lshrrev_b16_e32 v62, 10, v40
	v_mul_lo_u16_e32 v40, 6, v62
	v_mov_b32_e32 v67, 4
	v_sub_u16_e32 v63, v46, v40
	v_lshlrev_b32_sdwa v40, v67, v63 dst_sel:DWORD dst_unused:UNUSED_PAD src0_sel:DWORD src1_sel:BYTE_0
	global_load_dwordx4 v[40:43], v40, s[8:9] offset:32
	v_mul_lo_u16_sdwa v48, v0, s4 dst_sel:DWORD dst_unused:UNUSED_PAD src0_sel:BYTE_0 src1_sel:DWORD
	v_lshrrev_b16_e32 v64, 10, v48
	v_mul_lo_u16_e32 v48, 6, v64
	v_sub_u16_e32 v65, v0, v48
	v_lshlrev_b32_sdwa v48, v67, v65 dst_sel:DWORD dst_unused:UNUSED_PAD src0_sel:DWORD src1_sel:BYTE_0
	global_load_dwordx4 v[48:51], v48, s[8:9] offset:32
	ds_read2_b32 v[54:55], v28 offset0:116 offset1:242
	ds_read2_b32 v[60:61], v15 offset0:104 offset1:230
	v_mul_u32_u24_e32 v6, 0x48, v6
	s_mov_b32 s4, 0xe38f
	s_waitcnt vmcnt(4) lgkmcnt(1)
	v_mul_f32_e32 v68, v55, v17
	v_mul_f32_e32 v17, v45, v17
	v_fmac_f32_e32 v68, v45, v16
	v_fma_f32 v45, v55, v16, -v17
	s_waitcnt lgkmcnt(0)
	v_mul_f32_e32 v55, v60, v19
	v_mul_f32_e32 v16, v56, v19
	v_fmac_f32_e32 v55, v56, v18
	v_fma_f32 v56, v60, v18, -v16
	ds_read2_b32 v[16:17], v13 offset0:112 offset1:238
	s_waitcnt vmcnt(3)
	v_mul_f32_e32 v60, v61, v32
	v_mul_f32_e32 v18, v57, v32
	v_fmac_f32_e32 v60, v57, v31
	v_fma_f32 v31, v61, v31, -v18
	v_mul_f32_e32 v18, v58, v30
	s_waitcnt lgkmcnt(0)
	v_mul_f32_e32 v32, v16, v30
	v_fma_f32 v57, v16, v29, -v18
	ds_read_b32 v16, v1 offset:7056
	v_fmac_f32_e32 v32, v58, v29
	s_waitcnt vmcnt(2)
	v_mul_f32_e32 v58, v17, v34
	v_mul_f32_e32 v18, v59, v34
	v_fmac_f32_e32 v58, v59, v33
	v_fma_f32 v33, v17, v33, -v18
	s_waitcnt lgkmcnt(0)
	v_mul_f32_e32 v34, v16, v36
	v_mul_f32_e32 v17, v25, v36
	v_fmac_f32_e32 v34, v25, v35
	v_fma_f32 v25, v16, v35, -v17
	ds_read2_b32 v[16:17], v26 offset0:108 offset1:234
	s_waitcnt vmcnt(1)
	v_mul_f32_e32 v35, v54, v41
	v_mul_f32_e32 v18, v44, v41
	v_fmac_f32_e32 v35, v44, v40
	v_fma_f32 v36, v54, v40, -v18
	s_waitcnt lgkmcnt(0)
	v_mul_f32_e32 v44, v17, v43
	v_mul_f32_e32 v18, v38, v43
	v_fmac_f32_e32 v44, v38, v42
	v_fma_f32 v38, v17, v42, -v18
	ds_read2_b32 v[17:18], v24 offset0:120 offset1:246
	s_waitcnt vmcnt(0)
	v_mul_f32_e32 v40, v16, v51
	v_mul_f32_e32 v19, v37, v51
	v_fmac_f32_e32 v40, v37, v50
	v_fma_f32 v16, v16, v50, -v19
	s_waitcnt lgkmcnt(0)
	v_mul_f32_e32 v37, v18, v49
	v_mul_f32_e32 v19, v21, v49
	v_mov_b32_e32 v42, 2
	v_fmac_f32_e32 v37, v21, v48
	v_fma_f32 v21, v18, v48, -v19
	v_mul_u32_u24_e32 v18, 0x48, v64
	v_lshlrev_b32_sdwa v19, v42, v65 dst_sel:DWORD dst_unused:UNUSED_PAD src0_sel:DWORD src1_sel:BYTE_0
	v_add3_u32 v43, 0, v18, v19
	v_add_f32_e32 v18, v8, v37
	v_add_f32_e32 v41, v18, v40
	;; [unrolled: 1-line block ×3, first 2 shown]
	v_fma_f32 v8, -0.5, v18, v8
	v_sub_f32_e32 v48, v21, v16
	v_mov_b32_e32 v49, v8
	v_fmac_f32_e32 v49, 0xbf5db3d7, v48
	v_fmac_f32_e32 v8, 0x3f5db3d7, v48
	v_add_f32_e32 v48, v35, v44
	ds_read2_b32 v[18:19], v1 offset1:126
	ds_read2_b32 v[29:30], v4 offset0:124 offset1:250
	s_waitcnt lgkmcnt(0)
	s_barrier
	ds_write2_b32 v43, v41, v49 offset1:6
	v_add_f32_e32 v41, v9, v35
	v_fmac_f32_e32 v9, -0.5, v48
	ds_write_b32 v43, v8 offset:48
	v_mul_u32_u24_e32 v8, 0x48, v62
	v_lshlrev_b32_sdwa v48, v42, v63 dst_sel:DWORD dst_unused:UNUSED_PAD src0_sel:DWORD src1_sel:BYTE_0
	v_add3_u32 v54, 0, v8, v48
	v_sub_f32_e32 v8, v36, v38
	v_mov_b32_e32 v48, v9
	v_fmac_f32_e32 v48, 0xbf5db3d7, v8
	v_fmac_f32_e32 v9, 0x3f5db3d7, v8
	v_lshlrev_b32_e32 v8, 2, v10
	v_add3_u32 v6, 0, v6, v8
	v_add_f32_e32 v8, v68, v55
	v_add_f32_e32 v41, v41, v44
	v_fma_f32 v8, -0.5, v8, v52
	ds_write2_b32 v54, v41, v48 offset1:6
	ds_write_b32 v54, v9 offset:48
	v_sub_f32_e32 v9, v45, v56
	v_mov_b32_e32 v10, v8
	v_add_f32_e32 v41, v52, v68
	v_fmac_f32_e32 v10, 0xbf5db3d7, v9
	v_add_f32_e32 v41, v41, v55
	ds_write2_b32 v6, v41, v10 offset1:6
	v_add_f32_e32 v10, v18, v21
	v_add_f32_e32 v10, v10, v16
	;; [unrolled: 1-line block ×3, first 2 shown]
	v_sub_f32_e32 v21, v37, v40
	v_add_f32_e32 v37, v32, v60
	v_fmac_f32_e32 v8, 0x3f5db3d7, v9
	v_add_f32_e32 v9, v53, v32
	v_fmac_f32_e32 v53, -0.5, v37
	v_sub_f32_e32 v37, v57, v31
	v_mov_b32_e32 v40, v53
	ds_write_b32 v6, v8 offset:48
	v_mul_u32_u24_e32 v8, 0x48, v12
	v_lshlrev_b32_e32 v12, 2, v14
	v_fmac_f32_e32 v40, 0xbf5db3d7, v37
	v_add3_u32 v12, 0, v8, v12
	v_add_f32_e32 v8, v9, v60
	v_add_f32_e32 v9, v58, v34
	ds_write2_b32 v12, v8, v40 offset1:6
	v_add_f32_e32 v8, v20, v58
	v_fmac_f32_e32 v20, -0.5, v9
	v_fma_f32 v14, -0.5, v16, v18
	v_sub_f32_e32 v9, v33, v25
	v_mov_b32_e32 v18, v20
	v_mov_b32_e32 v16, v14
	v_fmac_f32_e32 v18, 0xbf5db3d7, v9
	v_fmac_f32_e32 v20, 0x3f5db3d7, v9
	v_mul_u32_u24_e32 v9, 0x48, v23
	v_lshlrev_b32_e32 v23, 2, v27
	v_fmac_f32_e32 v53, 0x3f5db3d7, v37
	v_fmac_f32_e32 v16, 0x3f5db3d7, v21
	v_add_f32_e32 v8, v8, v34
	v_add3_u32 v23, 0, v9, v23
	ds_write_b32 v12, v53 offset:48
	ds_write2_b32 v23, v8, v18 offset1:6
	ds_write_b32 v23, v20 offset:48
	s_waitcnt lgkmcnt(0)
	s_barrier
	ds_read2_b32 v[40:41], v1 offset1:126
	ds_read2_b32 v[8:9], v24 offset0:120 offset1:246
	ds_read2_b32 v[48:49], v26 offset0:108 offset1:234
	ds_read_b32 v69, v1 offset:7056
	ds_read2_b32 v[50:51], v28 offset0:116 offset1:242
	ds_read2_b32 v[61:62], v4 offset0:124 offset1:250
	;; [unrolled: 1-line block ×4, first 2 shown]
	s_waitcnt lgkmcnt(0)
	s_barrier
	ds_write2_b32 v43, v10, v16 offset1:6
	v_add_f32_e32 v16, v36, v38
	v_add_f32_e32 v10, v19, v36
	v_fmac_f32_e32 v19, -0.5, v16
	v_add_f32_e32 v20, v45, v56
	v_sub_f32_e32 v16, v35, v44
	v_mov_b32_e32 v18, v19
	v_fma_f32 v20, -0.5, v20, v29
	v_fmac_f32_e32 v14, 0xbf5db3d7, v21
	v_fmac_f32_e32 v18, 0x3f5db3d7, v16
	;; [unrolled: 1-line block ×3, first 2 shown]
	v_add_f32_e32 v16, v29, v45
	v_sub_f32_e32 v21, v68, v55
	v_mov_b32_e32 v27, v20
	v_add_f32_e32 v29, v57, v31
	v_fmac_f32_e32 v27, 0x3f5db3d7, v21
	v_fmac_f32_e32 v20, 0xbf5db3d7, v21
	v_add_f32_e32 v21, v30, v57
	v_fmac_f32_e32 v30, -0.5, v29
	v_add_f32_e32 v21, v21, v31
	v_sub_f32_e32 v29, v32, v60
	v_mov_b32_e32 v31, v30
	v_fmac_f32_e32 v31, 0x3f5db3d7, v29
	v_fmac_f32_e32 v30, 0xbf5db3d7, v29
	v_add_f32_e32 v29, v17, v33
	v_add_f32_e32 v29, v29, v25
	;; [unrolled: 1-line block ×3, first 2 shown]
	v_fmac_f32_e32 v17, -0.5, v25
	v_sub_f32_e32 v25, v58, v34
	v_mov_b32_e32 v32, v17
	v_add_f32_e32 v10, v10, v38
	v_add_f32_e32 v16, v16, v56
	v_fmac_f32_e32 v32, 0x3f5db3d7, v25
	v_fmac_f32_e32 v17, 0xbf5db3d7, v25
	ds_write_b32 v43, v14 offset:48
	ds_write2_b32 v54, v10, v18 offset1:6
	ds_write_b32 v54, v19 offset:48
	ds_write2_b32 v6, v16, v27 offset1:6
	;; [unrolled: 2-line block ×4, first 2 shown]
	ds_write_b32 v23, v17 offset:48
	v_mov_b32_e32 v6, 57
	v_mul_lo_u16_sdwa v10, v0, v6 dst_sel:DWORD dst_unused:UNUSED_PAD src0_sel:BYTE_0 src1_sel:DWORD
	v_mul_lo_u16_sdwa v6, v46, v6 dst_sel:DWORD dst_unused:UNUSED_PAD src0_sel:BYTE_0 src1_sel:DWORD
	v_lshrrev_b16_e32 v68, 10, v10
	v_lshrrev_b16_e32 v71, 10, v6
	v_mul_lo_u16_e32 v10, 18, v68
	v_mul_lo_u16_e32 v6, 18, v71
	v_sub_u16_e32 v70, v0, v10
	v_sub_u16_e32 v72, v46, v6
	v_lshlrev_b32_sdwa v10, v67, v70 dst_sel:DWORD dst_unused:UNUSED_PAD src0_sel:DWORD src1_sel:BYTE_0
	v_lshlrev_b32_sdwa v6, v67, v72 dst_sel:DWORD dst_unused:UNUSED_PAD src0_sel:DWORD src1_sel:BYTE_0
	s_waitcnt lgkmcnt(0)
	s_barrier
	global_load_dwordx4 v[16:19], v10, s[8:9] offset:128
	global_load_dwordx4 v[34:37], v6, s[8:9] offset:128
	v_mul_u32_u24_sdwa v6, v47, s4 dst_sel:DWORD dst_unused:UNUSED_PAD src0_sel:WORD_0 src1_sel:DWORD
	v_lshrrev_b32_e32 v67, 20, v6
	v_mul_lo_u16_e32 v6, 18, v67
	v_sub_u16_e32 v73, v47, v6
	v_lshlrev_b32_e32 v6, 4, v73
	global_load_dwordx4 v[53:56], v6, s[8:9] offset:128
	v_mul_u32_u24_sdwa v6, v22, s4 dst_sel:DWORD dst_unused:UNUSED_PAD src0_sel:WORD_0 src1_sel:DWORD
	v_lshrrev_b32_e32 v74, 20, v6
	v_mul_lo_u16_e32 v6, 18, v74
	v_sub_u16_e32 v75, v22, v6
	v_lshlrev_b32_e32 v6, 4, v75
	;; [unrolled: 6-line block ×3, first 2 shown]
	global_load_dwordx4 v[57:60], v6, s[8:9] offset:128
	ds_read2_b32 v[10:11], v24 offset0:120 offset1:246
	ds_read2_b32 v[24:25], v26 offset0:108 offset1:234
	;; [unrolled: 1-line block ×4, first 2 shown]
	s_waitcnt vmcnt(4)
	v_mul_f32_e32 v6, v9, v17
	s_waitcnt lgkmcnt(3)
	v_mul_f32_e32 v32, v11, v17
	v_fma_f32 v44, v11, v16, -v6
	ds_read2_b32 v[11:12], v15 offset0:104 offset1:230
	v_mul_f32_e32 v6, v48, v19
	v_fmac_f32_e32 v32, v9, v16
	s_waitcnt lgkmcnt(3)
	v_mul_f32_e32 v43, v24, v19
	v_fma_f32 v52, v24, v18, -v6
	s_waitcnt vmcnt(3) lgkmcnt(2)
	v_mul_f32_e32 v30, v26, v35
	v_mul_f32_e32 v6, v49, v37
	;; [unrolled: 1-line block ×3, first 2 shown]
	v_fmac_f32_e32 v43, v48, v18
	v_fmac_f32_e32 v30, v50, v34
	v_fma_f32 v48, v26, v34, -v9
	v_fma_f32 v50, v25, v36, -v6
	s_waitcnt vmcnt(2)
	v_mul_f32_e32 v6, v51, v54
	ds_read_b32 v9, v1 offset:7056
	v_mul_f32_e32 v33, v25, v37
	v_mul_f32_e32 v31, v27, v54
	v_fma_f32 v37, v27, v53, -v6
	v_mul_f32_e32 v6, v63, v56
	v_fmac_f32_e32 v31, v51, v53
	s_waitcnt lgkmcnt(1)
	v_fma_f32 v51, v11, v55, -v6
	s_waitcnt vmcnt(1)
	v_mul_f32_e32 v6, v64, v23
	v_fma_f32 v45, v12, v22, -v6
	v_mul_f32_e32 v6, v65, v21
	v_fmac_f32_e32 v33, v49, v36
	v_mul_f32_e32 v34, v13, v21
	v_fma_f32 v49, v13, v20, -v6
	s_waitcnt vmcnt(0)
	v_mul_f32_e32 v13, v69, v60
	s_waitcnt lgkmcnt(0)
	v_mul_f32_e32 v36, v9, v60
	v_fma_f32 v53, v9, v59, -v13
	v_add_f32_e32 v9, v32, v43
	v_mul_f32_e32 v35, v11, v56
	v_mul_f32_e32 v11, v66, v58
	v_fma_f32 v9, -0.5, v9, v40
	v_mul_f32_e32 v6, v14, v58
	v_fma_f32 v38, v14, v57, -v11
	v_sub_f32_e32 v13, v44, v52
	v_mov_b32_e32 v14, v9
	v_add_f32_e32 v15, v30, v33
	v_fmac_f32_e32 v14, 0xbf5db3d7, v13
	v_fmac_f32_e32 v9, 0x3f5db3d7, v13
	v_add_f32_e32 v13, v41, v30
	v_fmac_f32_e32 v41, -0.5, v15
	v_sub_f32_e32 v15, v48, v50
	v_mov_b32_e32 v16, v41
	v_fmac_f32_e32 v16, 0xbf5db3d7, v15
	v_fmac_f32_e32 v41, 0x3f5db3d7, v15
	ds_read2_b32 v[27:28], v4 offset0:124 offset1:250
	v_mul_u32_u24_e32 v4, 0xd8, v68
	v_lshlrev_b32_sdwa v15, v42, v70 dst_sel:DWORD dst_unused:UNUSED_PAD src0_sel:DWORD src1_sel:BYTE_0
	v_add3_u32 v54, 0, v4, v15
	v_add_f32_e32 v4, v40, v32
	v_fmac_f32_e32 v35, v63, v55
	v_add_f32_e32 v4, v4, v43
	v_mul_f32_e32 v29, v12, v23
	ds_read2_b32 v[11:12], v1 offset1:126
	s_waitcnt lgkmcnt(0)
	s_barrier
	ds_write2_b32 v54, v4, v14 offset1:18
	v_add_f32_e32 v4, v31, v35
	v_fmac_f32_e32 v29, v64, v22
	v_fmac_f32_e32 v34, v65, v20
	v_fma_f32 v4, -0.5, v4, v61
	v_sub_f32_e32 v14, v37, v51
	v_mov_b32_e32 v15, v4
	v_add_f32_e32 v17, v34, v29
	v_fmac_f32_e32 v6, v66, v57
	v_fmac_f32_e32 v36, v69, v59
	;; [unrolled: 1-line block ×4, first 2 shown]
	v_add_f32_e32 v14, v62, v34
	v_fmac_f32_e32 v62, -0.5, v17
	v_sub_f32_e32 v17, v49, v45
	v_mov_b32_e32 v18, v62
	v_add_f32_e32 v19, v6, v36
	v_fmac_f32_e32 v18, 0xbf5db3d7, v17
	v_fmac_f32_e32 v62, 0x3f5db3d7, v17
	v_add_f32_e32 v17, v8, v6
	v_fmac_f32_e32 v8, -0.5, v19
	ds_write_b32 v54, v9 offset:144
	v_lshlrev_b32_sdwa v9, v42, v72 dst_sel:DWORD dst_unused:UNUSED_PAD src0_sel:DWORD src1_sel:BYTE_0
	v_mul_u32_u24_e32 v19, 0xd8, v71
	v_add3_u32 v55, 0, v19, v9
	v_add_f32_e32 v9, v13, v33
	ds_write2_b32 v55, v9, v16 offset1:18
	v_sub_f32_e32 v9, v38, v53
	v_mov_b32_e32 v13, v8
	v_fmac_f32_e32 v13, 0xbf5db3d7, v9
	v_fmac_f32_e32 v8, 0x3f5db3d7, v9
	v_add_f32_e32 v9, v61, v31
	v_add_f32_e32 v16, v17, v36
	v_mul_u32_u24_e32 v17, 0xd8, v67
	v_lshlrev_b32_e32 v19, 2, v73
	v_add_f32_e32 v9, v9, v35
	v_add3_u32 v56, 0, v17, v19
	ds_write_b32 v55, v41 offset:144
	ds_write2_b32 v56, v9, v15 offset1:18
	ds_write_b32 v56, v4 offset:144
	v_mul_u32_u24_e32 v4, 0xd8, v74
	v_lshlrev_b32_e32 v9, 2, v75
	v_add3_u32 v57, 0, v4, v9
	v_mul_u32_u24_e32 v4, 0xd8, v76
	v_lshlrev_b32_e32 v9, 2, v77
	v_add_f32_e32 v14, v14, v29
	v_add3_u32 v58, 0, v4, v9
	v_add_u32_e32 v59, 0x400, v1
	v_add_u32_e32 v60, 0x800, v1
	ds_write2_b32 v57, v14, v18 offset1:18
	ds_write_b32 v57, v62 offset:144
	ds_write2_b32 v58, v16, v13 offset1:18
	ds_write_b32 v58, v8 offset:144
	s_waitcnt lgkmcnt(0)
	s_barrier
	ds_read2_b32 v[13:14], v1 offset1:126
	ds_read2_b32 v[19:20], v59 offset0:14 offset1:140
	v_add_u32_e32 v61, 0xc00, v1
	v_add_u32_e32 v62, 0x1000, v1
	v_add_u32_e32 v63, 0x1400, v1
	v_add_u32_e32 v64, 0x1800, v1
	ds_read2_b32 v[25:26], v60 offset0:28 offset1:154
	ds_read2_b32 v[23:24], v61 offset0:42 offset1:168
	;; [unrolled: 1-line block ×5, first 2 shown]
                                        ; implicit-def: $vgpr41
                                        ; implicit-def: $vgpr40
                                        ; implicit-def: $vgpr4
                                        ; implicit-def: $vgpr9
                                        ; implicit-def: $vgpr42
	s_and_saveexec_b64 s[4:5], vcc
	s_cbranch_execz .LBB0_19
; %bb.18:
	ds_read_b32 v8, v1 offset:1008
	ds_read_b32 v5, v1 offset:2088
	;; [unrolled: 1-line block ×7, first 2 shown]
.LBB0_19:
	s_or_b64 exec, exec, s[4:5]
	v_add_f32_e32 v65, v11, v44
	v_add_f32_e32 v44, v44, v52
	v_fma_f32 v11, -0.5, v44, v11
	v_sub_f32_e32 v32, v32, v43
	v_mov_b32_e32 v43, v11
	v_add_f32_e32 v44, v48, v50
	v_fmac_f32_e32 v43, 0x3f5db3d7, v32
	v_fmac_f32_e32 v11, 0xbf5db3d7, v32
	v_add_f32_e32 v32, v12, v48
	v_fmac_f32_e32 v12, -0.5, v44
	v_sub_f32_e32 v30, v30, v33
	v_mov_b32_e32 v33, v12
	v_fmac_f32_e32 v33, 0x3f5db3d7, v30
	v_fmac_f32_e32 v12, 0xbf5db3d7, v30
	v_add_f32_e32 v30, v27, v37
	v_add_f32_e32 v37, v37, v51
	v_fma_f32 v27, -0.5, v37, v27
	v_sub_f32_e32 v31, v31, v35
	v_mov_b32_e32 v35, v27
	v_add_f32_e32 v37, v49, v45
	v_fmac_f32_e32 v35, 0x3f5db3d7, v31
	v_fmac_f32_e32 v27, 0xbf5db3d7, v31
	v_add_f32_e32 v31, v28, v49
	v_fmac_f32_e32 v28, -0.5, v37
	v_sub_f32_e32 v29, v34, v29
	v_mov_b32_e32 v34, v28
	v_add_f32_e32 v37, v38, v53
	v_fmac_f32_e32 v34, 0x3f5db3d7, v29
	v_fmac_f32_e32 v28, 0xbf5db3d7, v29
	v_add_f32_e32 v29, v10, v38
	v_fmac_f32_e32 v10, -0.5, v37
	v_sub_f32_e32 v6, v6, v36
	v_mov_b32_e32 v36, v10
	v_add_f32_e32 v65, v65, v52
	v_add_f32_e32 v32, v32, v50
	;; [unrolled: 1-line block ×5, first 2 shown]
	v_fmac_f32_e32 v36, 0x3f5db3d7, v6
	v_fmac_f32_e32 v10, 0xbf5db3d7, v6
	s_waitcnt lgkmcnt(0)
	s_barrier
	ds_write2_b32 v54, v65, v43 offset1:18
	ds_write_b32 v54, v11 offset:144
	ds_write2_b32 v55, v32, v33 offset1:18
	ds_write_b32 v55, v12 offset:144
	;; [unrolled: 2-line block ×5, first 2 shown]
	s_waitcnt lgkmcnt(0)
	s_barrier
	ds_read2_b32 v[11:12], v1 offset1:126
	ds_read2_b32 v[37:38], v59 offset0:14 offset1:140
	ds_read2_b32 v[35:36], v60 offset0:28 offset1:154
	;; [unrolled: 1-line block ×6, first 2 shown]
                                        ; implicit-def: $vgpr59
                                        ; implicit-def: $vgpr58
                                        ; implicit-def: $vgpr56
                                        ; implicit-def: $vgpr57
                                        ; implicit-def: $vgpr60
	s_and_saveexec_b64 s[4:5], vcc
	s_cbranch_execz .LBB0_21
; %bb.20:
	ds_read_b32 v10, v1 offset:1008
	ds_read_b32 v7, v1 offset:2088
	ds_read_b32 v59, v1 offset:3168
	ds_read_b32 v60, v1 offset:4248
	ds_read_b32 v58, v1 offset:5328
	ds_read_b32 v57, v1 offset:6408
	ds_read_b32 v56, v1 offset:7488
.LBB0_21:
	s_or_b64 exec, exec, s[4:5]
	v_mov_b32_e32 v6, 19
	v_mul_lo_u16_sdwa v43, v0, v6 dst_sel:DWORD dst_unused:UNUSED_PAD src0_sel:BYTE_0 src1_sel:DWORD
	v_mul_lo_u16_sdwa v6, v46, v6 dst_sel:DWORD dst_unused:UNUSED_PAD src0_sel:BYTE_0 src1_sel:DWORD
	v_lshrrev_b16_e32 v85, 10, v43
	v_lshrrev_b16_e32 v87, 10, v6
	v_mul_lo_u16_e32 v43, 54, v85
	v_mul_lo_u16_e32 v6, 54, v87
	v_sub_u16_e32 v86, v0, v43
	v_mov_b32_e32 v43, 6
	v_sub_u16_e32 v88, v46, v6
	v_mul_u32_u24_sdwa v44, v86, v43 dst_sel:DWORD dst_unused:UNUSED_PAD src0_sel:BYTE_0 src1_sel:DWORD
	v_mul_u32_u24_sdwa v6, v88, v43 dst_sel:DWORD dst_unused:UNUSED_PAD src0_sel:BYTE_0 src1_sel:DWORD
	v_lshlrev_b32_e32 v44, 3, v44
	v_lshlrev_b32_e32 v6, 3, v6
	global_load_dwordx4 v[48:51], v44, s[8:9] offset:416
	global_load_dwordx4 v[52:55], v44, s[8:9] offset:432
	;; [unrolled: 1-line block ×3, first 2 shown]
	v_lshrrev_b16_e32 v43, 1, v47
	v_mul_u32_u24_e32 v43, 0x97b5, v43
	v_lshrrev_b32_e32 v43, 20, v43
	v_mul_lo_u16_e32 v43, 54, v43
	v_sub_u16_e32 v89, v47, v43
	v_mul_u32_u24_e32 v43, 6, v89
	v_lshlrev_b32_e32 v90, 3, v43
	global_load_dwordx4 v[65:68], v44, s[8:9] offset:448
	global_load_dwordx4 v[69:72], v6, s[8:9] offset:448
	;; [unrolled: 1-line block ×5, first 2 shown]
	s_mov_b32 s6, 0xbf5ff5aa
	s_mov_b32 s7, 0x3f3bfb3b
	s_mov_b32 s10, 0xbf3bfb3b
	s_mov_b32 s11, 0x3eae86e6
	s_waitcnt vmcnt(7) lgkmcnt(5)
	v_mul_f32_e32 v43, v37, v49
	v_mul_f32_e32 v6, v19, v49
	s_waitcnt lgkmcnt(4)
	v_mul_f32_e32 v44, v35, v51
	v_mul_f32_e32 v51, v25, v51
	s_waitcnt vmcnt(6) lgkmcnt(3)
	v_mul_f32_e32 v45, v33, v53
	v_mul_f32_e32 v53, v23, v53
	v_fmac_f32_e32 v43, v19, v48
	v_fma_f32 v49, v37, v48, -v6
	s_waitcnt lgkmcnt(2)
	v_mul_f32_e32 v48, v31, v55
	v_mul_f32_e32 v6, v21, v55
	s_waitcnt vmcnt(5)
	v_mul_f32_e32 v19, v38, v62
	v_fmac_f32_e32 v44, v25, v50
	v_fma_f32 v50, v35, v50, -v51
	v_fmac_f32_e32 v45, v23, v52
	v_fma_f32 v51, v33, v52, -v53
	;; [unrolled: 2-line block ×3, first 2 shown]
	v_mul_f32_e32 v6, v20, v62
	v_fmac_f32_e32 v19, v20, v61
	v_mul_f32_e32 v20, v36, v64
	v_mul_f32_e32 v21, v26, v64
	v_fma_f32 v31, v38, v61, -v6
	v_fmac_f32_e32 v20, v26, v63
	v_fma_f32 v33, v36, v63, -v21
	global_load_dwordx4 v[61:64], v90, s[8:9] offset:448
	s_waitcnt vmcnt(3)
	v_mul_f32_e32 v6, v24, v74
	s_waitcnt lgkmcnt(1)
	v_mul_f32_e32 v53, v29, v66
	v_mul_f32_e32 v23, v17, v66
	;; [unrolled: 1-line block ×3, first 2 shown]
	v_fma_f32 v34, v34, v73, -v6
	v_mul_f32_e32 v6, v22, v76
	v_fmac_f32_e32 v35, v24, v73
	s_waitcnt lgkmcnt(0)
	v_mul_f32_e32 v54, v27, v68
	v_mul_f32_e32 v24, v15, v68
	;; [unrolled: 1-line block ×3, first 2 shown]
	v_fma_f32 v32, v32, v75, -v6
	s_waitcnt vmcnt(2)
	v_mul_f32_e32 v6, v7, v78
	v_fmac_f32_e32 v53, v17, v65
	v_fma_f32 v17, v29, v65, -v23
	v_mul_f32_e32 v25, v18, v70
	v_mul_f32_e32 v38, v28, v72
	;; [unrolled: 1-line block ×4, first 2 shown]
	v_fmac_f32_e32 v54, v15, v67
	v_fma_f32 v55, v27, v67, -v24
	v_fmac_f32_e32 v6, v5, v77
	s_waitcnt vmcnt(1)
	v_mul_f32_e32 v5, v40, v84
	v_fmac_f32_e32 v36, v22, v75
	v_mul_f32_e32 v37, v30, v70
	v_mul_f32_e32 v22, v60, v82
	v_fma_f32 v15, v30, v69, -v25
	v_fmac_f32_e32 v38, v16, v71
	v_fma_f32 v16, v28, v71, -v26
	v_mul_f32_e32 v25, v58, v84
	v_fma_f32 v26, v58, v83, -v5
	v_mul_f32_e32 v21, v59, v80
	v_mul_f32_e32 v24, v42, v82
	v_fmac_f32_e32 v22, v42, v81
	v_fmac_f32_e32 v25, v40, v83
	v_add_f32_e32 v40, v45, v48
	v_mul_f32_e32 v23, v41, v80
	v_fmac_f32_e32 v37, v18, v69
	v_fmac_f32_e32 v21, v41, v79
	v_sub_f32_e32 v18, v50, v17
	v_sub_f32_e32 v41, v52, v51
	;; [unrolled: 1-line block ×3, first 2 shown]
	v_fma_f32 v23, v59, v79, -v23
	v_fma_f32 v24, v60, v81, -v24
	v_sub_f32_e32 v60, v32, v34
	s_waitcnt vmcnt(0)
	s_barrier
	v_fma_f32 v7, v7, v77, -v66
	v_mul_f32_e32 v29, v56, v64
	v_mul_f32_e32 v27, v57, v62
	v_fmac_f32_e32 v29, v4, v63
	v_mul_f32_e32 v4, v4, v64
	v_fmac_f32_e32 v27, v9, v61
	v_mul_f32_e32 v5, v9, v62
	v_fma_f32 v30, v56, v63, -v4
	v_add_f32_e32 v4, v43, v54
	v_add_f32_e32 v9, v44, v53
	;; [unrolled: 1-line block ×3, first 2 shown]
	v_sub_f32_e32 v56, v9, v4
	v_sub_f32_e32 v4, v4, v40
	;; [unrolled: 1-line block ×3, first 2 shown]
	v_add_f32_e32 v40, v40, v42
	v_fma_f32 v28, v57, v61, -v5
	v_sub_f32_e32 v5, v49, v55
	v_add_f32_e32 v57, v41, v18
	v_add_f32_e32 v13, v13, v40
	v_sub_f32_e32 v41, v5, v41
	v_sub_f32_e32 v18, v18, v5
	v_add_f32_e32 v5, v57, v5
	v_mul_f32_e32 v4, 0x3f4a47b2, v4
	v_mul_f32_e32 v42, 0x3d64c772, v9
	;; [unrolled: 1-line block ×3, first 2 shown]
	v_mov_b32_e32 v59, v13
	v_mul_f32_e32 v58, 0xbf5ff5aa, v18
	v_fmac_f32_e32 v59, 0xbf955555, v40
	v_fma_f32 v40, v56, s7, -v42
	v_fma_f32 v42, v56, s10, -v4
	v_fmac_f32_e32 v4, 0x3d64c772, v9
	v_fma_f32 v9, v18, s6, -v57
	v_fmac_f32_e32 v57, 0xbeae86e6, v41
	v_fma_f32 v18, v41, s11, -v58
	v_add_f32_e32 v4, v4, v59
	v_add_f32_e32 v40, v40, v59
	v_fmac_f32_e32 v57, 0xbee1c552, v5
	v_fmac_f32_e32 v9, 0xbee1c552, v5
	;; [unrolled: 1-line block ×3, first 2 shown]
	v_add_f32_e32 v5, v57, v4
	v_sub_f32_e32 v56, v40, v9
	v_add_f32_e32 v9, v9, v40
	v_sub_f32_e32 v4, v4, v57
	v_add_f32_e32 v40, v19, v38
	v_add_f32_e32 v57, v20, v37
	;; [unrolled: 1-line block ×5, first 2 shown]
	v_sub_f32_e32 v58, v33, v15
	v_sub_f32_e32 v62, v57, v40
	;; [unrolled: 1-line block ×4, first 2 shown]
	v_add_f32_e32 v59, v59, v61
	v_add_f32_e32 v42, v18, v41
	v_sub_f32_e32 v18, v41, v18
	v_sub_f32_e32 v41, v31, v16
	v_add_f32_e32 v63, v60, v58
	v_sub_f32_e32 v64, v60, v58
	v_add_f32_e32 v14, v14, v59
	v_sub_f32_e32 v60, v41, v60
	v_sub_f32_e32 v58, v58, v41
	v_add_f32_e32 v41, v63, v41
	v_mul_f32_e32 v40, 0x3f4a47b2, v40
	v_mul_f32_e32 v61, 0x3d64c772, v57
	;; [unrolled: 1-line block ×3, first 2 shown]
	v_mov_b32_e32 v65, v14
	v_mul_f32_e32 v64, 0xbf5ff5aa, v58
	v_fmac_f32_e32 v65, 0xbf955555, v59
	v_fma_f32 v59, v62, s7, -v61
	v_fma_f32 v61, v62, s10, -v40
	v_fmac_f32_e32 v40, 0x3d64c772, v57
	v_fma_f32 v57, v58, s6, -v63
	v_fma_f32 v58, v60, s11, -v64
	v_add_f32_e32 v59, v59, v65
	v_fmac_f32_e32 v57, 0xbee1c552, v41
	v_fmac_f32_e32 v63, 0xbeae86e6, v60
	v_add_f32_e32 v60, v61, v65
	v_fmac_f32_e32 v58, 0xbee1c552, v41
	v_sub_f32_e32 v64, v59, v57
	v_add_f32_e32 v59, v57, v59
	v_mov_b32_e32 v57, 2
	v_fmac_f32_e32 v63, 0xbee1c552, v41
	v_add_f32_e32 v62, v58, v60
	v_sub_f32_e32 v58, v60, v58
	v_mul_u32_u24_e32 v41, 0x5e8, v85
	v_lshlrev_b32_sdwa v60, v57, v86 dst_sel:DWORD dst_unused:UNUSED_PAD src0_sel:DWORD src1_sel:BYTE_0
	v_add3_u32 v41, 0, v41, v60
	ds_write2_b32 v41, v13, v5 offset1:54
	ds_write2_b32 v41, v42, v56 offset0:108 offset1:162
	v_add_u32_e32 v56, 0x200, v41
	ds_write2_b32 v56, v9, v18 offset0:88 offset1:142
	ds_write_b32 v41, v4 offset:1296
	v_mul_u32_u24_e32 v4, 0x5e8, v87
	v_lshlrev_b32_sdwa v5, v57, v88 dst_sel:DWORD dst_unused:UNUSED_PAD src0_sel:DWORD src1_sel:BYTE_0
	v_add_f32_e32 v40, v40, v65
	v_add3_u32 v42, 0, v4, v5
	v_add_f32_e32 v61, v63, v40
	v_sub_f32_e32 v40, v40, v63
	v_add_u32_e32 v57, 0x200, v42
	ds_write2_b32 v42, v14, v61 offset1:54
	ds_write2_b32 v42, v62, v64 offset0:108 offset1:162
	ds_write2_b32 v57, v59, v58 offset0:88 offset1:142
	ds_write_b32 v42, v40 offset:1296
	v_lshl_add_u32 v40, v89, 2, 0
	s_and_saveexec_b64 s[4:5], vcc
	s_cbranch_execz .LBB0_23
; %bb.22:
	v_add_f32_e32 v4, v6, v29
	v_add_f32_e32 v5, v22, v25
	v_sub_f32_e32 v9, v4, v5
	v_mul_f32_e32 v9, 0x3f4a47b2, v9
	v_add_f32_e32 v13, v21, v27
	v_sub_f32_e32 v14, v5, v13
	v_mov_b32_e32 v58, v9
	v_mul_f32_e32 v18, 0x3d64c772, v14
	v_fmac_f32_e32 v58, 0x3d64c772, v14
	v_add_f32_e32 v14, v13, v4
	v_add_f32_e32 v5, v5, v14
	;; [unrolled: 1-line block ×3, first 2 shown]
	v_mov_b32_e32 v14, v8
	v_sub_f32_e32 v59, v26, v24
	v_sub_f32_e32 v61, v23, v28
	v_fmac_f32_e32 v14, 0xbf955555, v5
	v_sub_f32_e32 v62, v59, v61
	v_add_f32_e32 v5, v58, v14
	v_sub_f32_e32 v58, v7, v30
	v_mul_f32_e32 v62, 0x3f08b237, v62
	v_sub_f32_e32 v60, v58, v59
	v_mov_b32_e32 v63, v62
	v_add_f32_e32 v59, v59, v61
	v_sub_f32_e32 v4, v13, v4
	v_sub_f32_e32 v13, v61, v58
	v_fmac_f32_e32 v63, 0xbeae86e6, v60
	v_add_f32_e32 v59, v59, v58
	v_fma_f32 v9, v4, s10, -v9
	v_mul_f32_e32 v58, 0xbf5ff5aa, v13
	v_fma_f32 v13, v13, s6, -v62
	v_fma_f32 v4, v4, s7, -v18
	v_fmac_f32_e32 v63, 0xbee1c552, v59
	v_fma_f32 v58, v60, s11, -v58
	v_fmac_f32_e32 v13, 0xbee1c552, v59
	v_add_f32_e32 v4, v4, v14
	v_sub_f32_e32 v64, v5, v63
	v_add_f32_e32 v9, v9, v14
	v_fmac_f32_e32 v58, 0xbee1c552, v59
	v_add_f32_e32 v14, v13, v4
	v_sub_f32_e32 v4, v4, v13
	v_add_f32_e32 v5, v63, v5
	v_add_u32_e32 v13, 0x1600, v40
	v_sub_f32_e32 v60, v9, v58
	v_add_f32_e32 v9, v58, v9
	ds_write2_b32 v13, v8, v5 offset0:104 offset1:158
	v_add_u32_e32 v5, 0x1800, v40
	ds_write2_b32 v5, v9, v4 offset0:84 offset1:138
	ds_write2_b32 v5, v14, v60 offset0:192 offset1:246
	ds_write_b32 v40, v64 offset:7344
.LBB0_23:
	s_or_b64 exec, exec, s[4:5]
	v_add_f32_e32 v4, v49, v55
	v_add_f32_e32 v8, v50, v17
	v_sub_f32_e32 v9, v44, v53
	v_add_f32_e32 v13, v51, v52
	v_sub_f32_e32 v14, v48, v45
	;; [unrolled: 2-line block ×3, first 2 shown]
	v_sub_f32_e32 v18, v8, v4
	v_sub_f32_e32 v4, v4, v13
	;; [unrolled: 1-line block ×3, first 2 shown]
	v_add_f32_e32 v43, v14, v9
	v_add_f32_e32 v13, v13, v17
	v_sub_f32_e32 v44, v14, v9
	v_sub_f32_e32 v14, v5, v14
	;; [unrolled: 1-line block ×3, first 2 shown]
	v_add_f32_e32 v5, v43, v5
	v_add_f32_e32 v43, v11, v13
	v_mul_f32_e32 v4, 0x3f4a47b2, v4
	v_mul_f32_e32 v11, 0x3d64c772, v8
	;; [unrolled: 1-line block ×3, first 2 shown]
	v_mov_b32_e32 v45, v43
	v_fmac_f32_e32 v45, 0xbf955555, v13
	v_fma_f32 v11, v18, s7, -v11
	v_fma_f32 v13, v18, s10, -v4
	v_fmac_f32_e32 v4, 0x3d64c772, v8
	v_fma_f32 v8, v9, s6, -v17
	v_fmac_f32_e32 v17, 0xbeae86e6, v14
	v_mul_f32_e32 v44, 0xbf5ff5aa, v9
	v_add_f32_e32 v4, v4, v45
	v_add_f32_e32 v11, v11, v45
	v_fmac_f32_e32 v17, 0xbee1c552, v5
	v_fmac_f32_e32 v8, 0xbee1c552, v5
	v_fma_f32 v9, v14, s11, -v44
	v_sub_f32_e32 v44, v4, v17
	v_add_f32_e32 v48, v8, v11
	v_sub_f32_e32 v49, v11, v8
	v_add_f32_e32 v51, v17, v4
	v_add_f32_e32 v4, v31, v16
	;; [unrolled: 1-line block ×4, first 2 shown]
	v_fmac_f32_e32 v9, 0xbee1c552, v5
	v_add_f32_e32 v11, v34, v32
	v_add_f32_e32 v14, v8, v4
	v_sub_f32_e32 v45, v13, v9
	v_add_f32_e32 v50, v9, v13
	v_sub_f32_e32 v9, v20, v37
	v_sub_f32_e32 v13, v36, v35
	v_sub_f32_e32 v15, v8, v4
	v_sub_f32_e32 v4, v4, v11
	v_sub_f32_e32 v8, v11, v8
	v_add_f32_e32 v11, v11, v14
	v_sub_f32_e32 v5, v19, v38
	v_sub_f32_e32 v17, v13, v9
	v_add_f32_e32 v32, v12, v11
	v_add_f32_e32 v16, v13, v9
	v_sub_f32_e32 v9, v9, v5
	v_mul_f32_e32 v4, 0x3f4a47b2, v4
	v_mul_f32_e32 v12, 0x3d64c772, v8
	;; [unrolled: 1-line block ×3, first 2 shown]
	v_mov_b32_e32 v17, v32
	v_sub_f32_e32 v13, v5, v13
	v_add_f32_e32 v5, v16, v5
	v_fmac_f32_e32 v17, 0xbf955555, v11
	v_fma_f32 v11, v15, s7, -v12
	v_fma_f32 v12, v15, s10, -v4
	v_fmac_f32_e32 v4, 0x3d64c772, v8
	v_fma_f32 v8, v9, s6, -v14
	v_mul_f32_e32 v16, 0xbf5ff5aa, v9
	v_fmac_f32_e32 v14, 0xbeae86e6, v13
	v_add_f32_e32 v11, v11, v17
	v_fmac_f32_e32 v8, 0xbee1c552, v5
	v_fma_f32 v9, v13, s11, -v16
	v_add_f32_e32 v4, v4, v17
	v_fmac_f32_e32 v14, 0xbee1c552, v5
	v_add_f32_e32 v35, v8, v11
	v_sub_f32_e32 v36, v11, v8
	v_add_u32_e32 v8, 0x200, v1
	v_add_f32_e32 v12, v12, v17
	v_fmac_f32_e32 v9, 0xbee1c552, v5
	v_sub_f32_e32 v33, v4, v14
	v_add_f32_e32 v38, v14, v4
	s_waitcnt lgkmcnt(0)
	s_barrier
	ds_read2_b32 v[13:14], v8 offset0:124 offset1:250
	v_add_u32_e32 v8, 0xa00, v1
	v_add_u32_e32 v17, 0x600, v1
	v_sub_f32_e32 v34, v12, v9
	v_add_f32_e32 v37, v9, v12
	ds_read2_b32 v[11:12], v8 offset0:116 offset1:242
	v_add_u32_e32 v8, 0xe00, v1
	v_add_u32_e32 v15, 0x1600, v1
	ds_read2_b32 v[19:20], v17 offset0:120 offset1:246
	v_add_u32_e32 v17, 0x1200, v1
	ds_read2_b32 v[4:5], v1 offset1:126
	ds_read2_b32 v[8:9], v8 offset0:112 offset1:238
	ds_read2_b32 v[15:16], v15 offset0:104 offset1:230
	;; [unrolled: 1-line block ×3, first 2 shown]
	ds_read_b32 v31, v1 offset:7056
	s_waitcnt lgkmcnt(0)
	s_barrier
	ds_write2_b32 v41, v43, v44 offset1:54
	ds_write2_b32 v41, v45, v48 offset0:108 offset1:162
	ds_write2_b32 v56, v49, v50 offset0:88 offset1:142
	ds_write_b32 v41, v51 offset:1296
	ds_write2_b32 v42, v32, v33 offset1:54
	ds_write2_b32 v42, v34, v35 offset0:108 offset1:162
	ds_write2_b32 v57, v36, v37 offset0:88 offset1:142
	ds_write_b32 v42, v38 offset:1296
	s_and_saveexec_b64 s[4:5], vcc
	s_cbranch_execz .LBB0_25
; %bb.24:
	v_add_f32_e32 v7, v7, v30
	v_add_f32_e32 v23, v23, v28
	;; [unrolled: 1-line block ×3, first 2 shown]
	v_sub_f32_e32 v22, v25, v22
	v_add_f32_e32 v25, v23, v7
	v_sub_f32_e32 v26, v23, v7
	v_sub_f32_e32 v7, v7, v24
	;; [unrolled: 1-line block ×3, first 2 shown]
	v_add_f32_e32 v24, v24, v25
	v_sub_f32_e32 v21, v21, v27
	v_add_f32_e32 v10, v10, v24
	v_sub_f32_e32 v6, v6, v29
	;; [unrolled: 2-line block ×3, first 2 shown]
	v_mul_f32_e32 v25, 0x3d64c772, v23
	v_mov_b32_e32 v29, v10
	v_sub_f32_e32 v22, v6, v22
	v_sub_f32_e32 v21, v21, v6
	v_add_f32_e32 v6, v27, v6
	v_mul_f32_e32 v7, 0x3f4a47b2, v7
	v_mul_f32_e32 v27, 0x3f08b237, v28
	v_fmac_f32_e32 v29, 0xbf955555, v24
	v_fma_f32 v24, v26, s7, -v25
	s_mov_b32 s7, 0xbf3bfb3b
	v_mul_f32_e32 v28, 0xbf5ff5aa, v21
	v_fma_f32 v25, v26, s7, -v7
	v_fmac_f32_e32 v7, 0x3d64c772, v23
	v_fma_f32 v21, v21, s6, -v27
	v_fmac_f32_e32 v27, 0xbeae86e6, v22
	s_mov_b32 s6, 0x3eae86e6
	v_fma_f32 v22, v22, s6, -v28
	v_add_f32_e32 v7, v7, v29
	v_add_f32_e32 v23, v24, v29
	v_fmac_f32_e32 v27, 0xbee1c552, v6
	v_fmac_f32_e32 v21, 0xbee1c552, v6
	v_add_f32_e32 v24, v25, v29
	v_fmac_f32_e32 v22, 0xbee1c552, v6
	v_sub_f32_e32 v6, v7, v27
	v_add_f32_e32 v26, v21, v23
	v_sub_f32_e32 v21, v23, v21
	v_add_u32_e32 v23, 0x1600, v40
	v_sub_f32_e32 v25, v24, v22
	ds_write2_b32 v23, v10, v6 offset0:104 offset1:158
	v_add_u32_e32 v6, 0x1800, v40
	v_add_f32_e32 v22, v22, v24
	v_add_f32_e32 v7, v27, v7
	ds_write2_b32 v6, v25, v26 offset0:84 offset1:138
	ds_write2_b32 v6, v21, v22 offset0:192 offset1:246
	ds_write_b32 v40, v7 offset:7344
.LBB0_25:
	s_or_b64 exec, exec, s[4:5]
	s_waitcnt lgkmcnt(0)
	s_barrier
	s_and_saveexec_b64 s[4:5], s[0:1]
	s_cbranch_execz .LBB0_27
; %bb.26:
	v_lshlrev_b32_e32 v6, 2, v47
	v_mov_b32_e32 v7, 0
	v_lshlrev_b64 v[21:22], 3, v[6:7]
	v_mov_b32_e32 v10, s9
	v_add_co_u32_e32 v29, vcc, s8, v21
	v_addc_co_u32_e32 v30, vcc, v10, v22, vcc
	global_load_dwordx4 v[21:24], v[29:30], off offset:3008
	global_load_dwordx4 v[25:28], v[29:30], off offset:3024
	v_add_u32_e32 v6, 0x600, v1
	ds_read2_b32 v[29:30], v6 offset0:120 offset1:246
	v_lshlrev_b32_e32 v6, 2, v46
	v_lshlrev_b64 v[32:33], 3, v[6:7]
	v_add_u32_e32 v38, 0xe00, v1
	v_add_co_u32_e32 v36, vcc, s8, v32
	ds_read_b32 v48, v1 offset:7056
	v_add_u32_e32 v44, 0x1200, v1
	v_add_u32_e32 v47, 0x200, v1
	v_addc_co_u32_e32 v37, vcc, v10, v33, vcc
	global_load_dwordx4 v[32:35], v[36:37], off offset:3024
	global_load_dwordx4 v[40:43], v[36:37], off offset:3008
	ds_read2_b32 v[36:37], v38 offset0:112 offset1:238
	ds_read2_b32 v[44:45], v44 offset0:108 offset1:234
	;; [unrolled: 1-line block ×3, first 2 shown]
	s_movk_i32 s0, 0x1000
	s_movk_i32 s1, 0x2000
	s_waitcnt vmcnt(3)
	v_mul_f32_e32 v6, v20, v22
	v_mul_f32_e32 v38, v8, v24
	s_waitcnt vmcnt(2)
	v_mul_f32_e32 v49, v31, v28
	v_mul_f32_e32 v50, v18, v26
	s_waitcnt lgkmcnt(2)
	v_mul_f32_e32 v24, v36, v24
	v_fma_f32 v6, v21, v30, -v6
	v_fma_f32 v36, v23, v36, -v38
	v_fma_f32 v38, v27, v48, -v49
	v_mul_f32_e32 v22, v30, v22
	v_mul_f32_e32 v28, v48, v28
	s_waitcnt lgkmcnt(1)
	v_mul_f32_e32 v26, v45, v26
	v_fma_f32 v52, v25, v45, -v50
	v_fmac_f32_e32 v24, v8, v23
	v_sub_f32_e32 v8, v6, v36
	v_sub_f32_e32 v54, v6, v38
	;; [unrolled: 1-line block ×3, first 2 shown]
	v_add_f32_e32 v49, v6, v38
	s_waitcnt lgkmcnt(0)
	v_add_f32_e32 v6, v6, v46
	v_fmac_f32_e32 v22, v20, v21
	v_fmac_f32_e32 v28, v31, v27
	v_add_f32_e32 v6, v36, v6
	v_fmac_f32_e32 v26, v18, v25
	v_add_f32_e32 v20, v36, v52
	v_sub_f32_e32 v48, v52, v38
	v_add_f32_e32 v53, v22, v28
	v_add_f32_e32 v6, v52, v6
	v_sub_f32_e32 v18, v38, v52
	v_sub_f32_e32 v25, v22, v24
	;; [unrolled: 1-line block ×5, first 2 shown]
	v_fma_f32 v31, -0.5, v20, v46
	v_add_f32_e32 v20, v45, v48
	v_fma_f32 v46, -0.5, v49, v46
	v_fma_f32 v45, -0.5, v53, v13
	v_add_f32_e32 v53, v38, v6
	v_add_f32_e32 v6, v13, v22
	v_sub_f32_e32 v23, v24, v26
	v_add_f32_e32 v8, v8, v18
	v_add_f32_e32 v18, v25, v27
	;; [unrolled: 1-line block ×3, first 2 shown]
	v_mov_b32_e32 v51, v46
	v_add_f32_e32 v6, v6, v24
	v_sub_f32_e32 v21, v22, v28
	v_fmac_f32_e32 v51, 0xbf737871, v23
	v_add_f32_e32 v6, v6, v26
	v_fmac_f32_e32 v46, 0x3f737871, v23
	v_add_f32_e32 v30, v24, v26
	v_sub_f32_e32 v55, v36, v52
	v_mov_b32_e32 v49, v31
	v_fmac_f32_e32 v51, 0x3f167918, v21
	v_add_f32_e32 v52, v28, v6
	v_fmac_f32_e32 v46, 0xbf167918, v21
	v_lshlrev_b32_e32 v6, 2, v0
	v_fma_f32 v30, -0.5, v30, v13
	v_mov_b32_e32 v50, v45
	v_fmac_f32_e32 v31, 0x3f737871, v21
	v_fmac_f32_e32 v49, 0xbf737871, v21
	;; [unrolled: 1-line block ×4, first 2 shown]
	v_lshlrev_b64 v[20:21], 3, v[6:7]
	v_mov_b32_e32 v48, v30
	v_fmac_f32_e32 v50, 0x3f737871, v55
	v_fmac_f32_e32 v45, 0xbf737871, v55
	;; [unrolled: 1-line block ×6, first 2 shown]
	v_add_co_u32_e32 v54, vcc, s8, v20
	v_fmac_f32_e32 v30, 0xbf167918, v55
	v_fmac_f32_e32 v48, 0x3f167918, v55
	v_addc_co_u32_e32 v55, vcc, v10, v21, vcc
	v_fmac_f32_e32 v31, 0x3f167918, v23
	v_fmac_f32_e32 v49, 0xbf167918, v23
	;; [unrolled: 1-line block ×4, first 2 shown]
	global_load_dwordx4 v[20:23], v[54:55], off offset:3024
	global_load_dwordx4 v[24:27], v[54:55], off offset:3008
	v_fmac_f32_e32 v31, 0x3e9e377a, v8
	v_fmac_f32_e32 v49, 0x3e9e377a, v8
	s_waitcnt vmcnt(2)
	v_mul_f32_e32 v8, v19, v41
	v_fma_f32 v6, v40, v29, -v8
	v_add_u32_e32 v8, 0x1600, v1
	v_add_u32_e32 v13, 0xa00, v1
	ds_read2_b32 v[56:57], v8 offset0:104 offset1:230
	ds_read2_b32 v[54:55], v13 offset0:116 offset1:242
	ds_read2_b32 v[58:59], v1 offset1:126
	v_mul_f32_e32 v13, v16, v35
	v_mul_f32_e32 v8, v12, v43
	s_waitcnt lgkmcnt(2)
	v_fma_f32 v36, v34, v57, -v13
	v_mul_f32_e32 v13, v17, v33
	v_mul_f32_e32 v38, v29, v41
	s_waitcnt lgkmcnt(1)
	v_fma_f32 v8, v42, v55, -v8
	v_fma_f32 v1, v32, v44, -v13
	v_fmac_f32_e32 v38, v19, v40
	v_mul_f32_e32 v19, v57, v35
	v_fmac_f32_e32 v19, v16, v34
	v_mul_f32_e32 v34, v55, v43
	v_sub_f32_e32 v28, v8, v6
	v_sub_f32_e32 v29, v1, v36
	;; [unrolled: 1-line block ×3, first 2 shown]
	v_fmac_f32_e32 v34, v12, v42
	v_mul_f32_e32 v35, v44, v33
	v_sub_f32_e32 v42, v6, v36
	v_add_f32_e32 v44, v28, v29
	v_add_f32_e32 v28, v6, v36
	s_waitcnt lgkmcnt(0)
	v_add_f32_e32 v6, v6, v59
	v_sub_f32_e32 v13, v36, v1
	v_add_f32_e32 v6, v8, v6
	v_add_f32_e32 v10, v10, v13
	;; [unrolled: 1-line block ×3, first 2 shown]
	v_sub_f32_e32 v43, v8, v1
	v_add_f32_e32 v1, v1, v6
	v_fmac_f32_e32 v35, v17, v32
	v_fma_f32 v29, -0.5, v28, v59
	v_add_f32_e32 v6, v36, v1
	v_add_f32_e32 v1, v5, v38
	v_fma_f32 v13, -0.5, v13, v59
	v_sub_f32_e32 v40, v34, v35
	v_sub_f32_e32 v12, v38, v34
	;; [unrolled: 1-line block ×3, first 2 shown]
	v_mov_b32_e32 v33, v29
	v_sub_f32_e32 v28, v34, v38
	v_sub_f32_e32 v32, v35, v19
	v_add_f32_e32 v1, v1, v34
	v_fmac_f32_e32 v30, 0x3e9e377a, v18
	v_fmac_f32_e32 v48, 0x3e9e377a, v18
	v_sub_f32_e32 v16, v38, v19
	v_mov_b32_e32 v18, v13
	v_add_f32_e32 v41, v12, v17
	v_add_f32_e32 v12, v34, v35
	v_fmac_f32_e32 v33, 0x3f737871, v40
	v_add_f32_e32 v55, v28, v32
	v_add_f32_e32 v28, v38, v19
	v_fmac_f32_e32 v29, 0xbf737871, v40
	v_add_f32_e32 v1, v1, v35
	v_fmac_f32_e32 v18, 0xbf737871, v16
	v_fma_f32 v12, -0.5, v12, v5
	v_fmac_f32_e32 v33, 0xbf167918, v16
	v_fma_f32 v28, -0.5, v28, v5
	v_fmac_f32_e32 v29, 0x3f167918, v16
	v_fmac_f32_e32 v13, 0x3f737871, v16
	v_add_f32_e32 v5, v19, v1
	v_fmac_f32_e32 v18, 0xbf167918, v40
	v_fmac_f32_e32 v13, 0x3f167918, v40
	;; [unrolled: 1-line block ×4, first 2 shown]
	v_mov_b32_e32 v17, v12
	v_fmac_f32_e32 v17, 0x3f737871, v42
	v_fmac_f32_e32 v12, 0xbf737871, v42
	;; [unrolled: 1-line block ×6, first 2 shown]
	v_add_co_u32_e32 v2, vcc, s2, v2
	s_waitcnt vmcnt(1)
	v_mul_f32_e32 v16, v15, v23
	s_waitcnt vmcnt(0)
	v_mul_f32_e32 v8, v11, v27
	v_mul_f32_e32 v27, v54, v27
	;; [unrolled: 1-line block ×5, first 2 shown]
	v_fmac_f32_e32 v27, v11, v26
	v_mul_f32_e32 v11, v37, v21
	v_mul_f32_e32 v19, v9, v21
	v_fmac_f32_e32 v25, v14, v24
	v_fmac_f32_e32 v23, v15, v22
	v_fmac_f32_e32 v11, v9, v20
	v_fma_f32 v1, v47, v24, -v1
	v_fma_f32 v8, v26, v54, -v8
	;; [unrolled: 1-line block ×4, first 2 shown]
	v_sub_f32_e32 v9, v25, v27
	v_sub_f32_e32 v14, v23, v11
	;; [unrolled: 1-line block ×4, first 2 shown]
	v_add_f32_e32 v24, v9, v14
	v_add_f32_e32 v9, v27, v11
	;; [unrolled: 1-line block ×3, first 2 shown]
	v_fma_f32 v9, -0.5, v9, v4
	v_sub_f32_e32 v19, v8, v1
	v_sub_f32_e32 v20, v34, v16
	;; [unrolled: 1-line block ×3, first 2 shown]
	v_mov_b32_e32 v14, v9
	v_add_f32_e32 v40, v19, v20
	v_add_f32_e32 v19, v1, v16
	;; [unrolled: 1-line block ×3, first 2 shown]
	v_fmac_f32_e32 v14, 0x3f737871, v37
	v_sub_f32_e32 v38, v8, v34
	v_fmac_f32_e32 v9, 0xbf737871, v37
	v_add_f32_e32 v1, v8, v1
	v_fmac_f32_e32 v14, 0x3f167918, v38
	v_fmac_f32_e32 v9, 0xbf167918, v38
	v_add_f32_e32 v1, v34, v1
	v_fmac_f32_e32 v14, 0x3e9e377a, v24
	v_fmac_f32_e32 v9, 0x3e9e377a, v24
	v_add_f32_e32 v24, v16, v1
	v_add_f32_e32 v1, v4, v25
	;; [unrolled: 1-line block ×3, first 2 shown]
	v_fma_f32 v20, -0.5, v19, v58
	v_sub_f32_e32 v19, v27, v25
	v_sub_f32_e32 v21, v11, v23
	v_add_f32_e32 v1, v1, v11
	v_sub_f32_e32 v36, v25, v23
	v_add_f32_e32 v41, v19, v21
	v_add_f32_e32 v19, v25, v23
	;; [unrolled: 1-line block ×3, first 2 shown]
	v_mov_b32_e32 v1, v7
	v_fma_f32 v19, -0.5, v19, v4
	v_mov_b32_e32 v4, s3
	v_lshlrev_b64 v[0:1], 3, v[0:1]
	v_addc_co_u32_e32 v3, vcc, v4, v3, vcc
	v_add_co_u32_e32 v0, vcc, v2, v0
	v_add_f32_e32 v10, v8, v34
	v_addc_co_u32_e32 v1, vcc, v3, v1, vcc
	v_fma_f32 v10, -0.5, v10, v58
	v_sub_f32_e32 v26, v27, v11
	v_mov_b32_e32 v22, v20
	v_mov_b32_e32 v21, v19
	v_add_co_u32_e32 v2, vcc, s0, v0
	v_mov_b32_e32 v32, v28
	v_mov_b32_e32 v15, v10
	v_fmac_f32_e32 v22, 0xbf737871, v26
	v_fmac_f32_e32 v21, 0x3f737871, v38
	;; [unrolled: 1-line block ×5, first 2 shown]
	v_addc_co_u32_e32 v3, vcc, 0, v1, vcc
	s_mov_b32 s2, 0xad602b59
	v_fmac_f32_e32 v32, 0xbf737871, v43
	v_fmac_f32_e32 v28, 0x3f737871, v43
	;; [unrolled: 1-line block ×8, first 2 shown]
	v_add_co_u32_e32 v8, vcc, s1, v0
	v_mul_hi_u32 v4, v39, s2
	v_fmac_f32_e32 v32, 0x3f167918, v42
	v_fmac_f32_e32 v28, 0xbf167918, v42
	;; [unrolled: 1-line block ×8, first 2 shown]
	global_store_dwordx2 v[0:1], v[23:24], off
	global_store_dwordx2 v[0:1], v[9:10], off offset:3024
	v_addc_co_u32_e32 v9, vcc, 0, v1, vcc
	s_movk_i32 s1, 0x3000
	v_fmac_f32_e32 v33, 0x3e9e377a, v44
	v_fmac_f32_e32 v32, 0x3e9e377a, v55
	;; [unrolled: 1-line block ×5, first 2 shown]
	global_store_dwordx2 v[2:3], v[21:22], off offset:1952
	global_store_dwordx2 v[8:9], v[19:20], off offset:880
	;; [unrolled: 1-line block ×7, first 2 shown]
	v_add_co_u32_e32 v2, vcc, s1, v0
	v_addc_co_u32_e32 v3, vcc, 0, v1, vcc
	global_store_dwordx2 v[2:3], v[17:18], off offset:816
	v_lshrrev_b32_e32 v2, 7, v4
	v_mul_u32_u24_e32 v6, 0x5e8, v2
	v_lshlrev_b64 v[2:3], 3, v[6:7]
	s_movk_i32 s1, 0x7e0
	v_add_co_u32_e32 v0, vcc, v0, v2
	v_addc_co_u32_e32 v1, vcc, v1, v3, vcc
	v_add_co_u32_e32 v2, vcc, s1, v0
	v_addc_co_u32_e32 v3, vcc, 0, v1, vcc
	global_store_dwordx2 v[0:1], v[52:53], off offset:2016
	global_store_dwordx2 v[2:3], v[30:31], off offset:3024
	v_add_co_u32_e32 v2, vcc, s0, v0
	v_addc_co_u32_e32 v3, vcc, 0, v1, vcc
	global_store_dwordx2 v[2:3], v[50:51], off offset:3968
	v_add_co_u32_e32 v2, vcc, 0x2000, v0
	v_addc_co_u32_e32 v3, vcc, 0, v1, vcc
	v_add_co_u32_e32 v0, vcc, 0x3000, v0
	v_addc_co_u32_e32 v1, vcc, 0, v1, vcc
	global_store_dwordx2 v[2:3], v[45:46], off offset:2896
	global_store_dwordx2 v[0:1], v[48:49], off offset:1824
.LBB0_27:
	s_endpgm
	.section	.rodata,"a",@progbits
	.p2align	6, 0x0
	.amdhsa_kernel fft_rtc_back_len1890_factors_2_3_3_3_7_5_wgs_126_tpt_126_halfLds_sp_ip_CI_unitstride_sbrr_dirReg
		.amdhsa_group_segment_fixed_size 0
		.amdhsa_private_segment_fixed_size 0
		.amdhsa_kernarg_size 88
		.amdhsa_user_sgpr_count 6
		.amdhsa_user_sgpr_private_segment_buffer 1
		.amdhsa_user_sgpr_dispatch_ptr 0
		.amdhsa_user_sgpr_queue_ptr 0
		.amdhsa_user_sgpr_kernarg_segment_ptr 1
		.amdhsa_user_sgpr_dispatch_id 0
		.amdhsa_user_sgpr_flat_scratch_init 0
		.amdhsa_user_sgpr_private_segment_size 0
		.amdhsa_uses_dynamic_stack 0
		.amdhsa_system_sgpr_private_segment_wavefront_offset 0
		.amdhsa_system_sgpr_workgroup_id_x 1
		.amdhsa_system_sgpr_workgroup_id_y 0
		.amdhsa_system_sgpr_workgroup_id_z 0
		.amdhsa_system_sgpr_workgroup_info 0
		.amdhsa_system_vgpr_workitem_id 0
		.amdhsa_next_free_vgpr 91
		.amdhsa_next_free_sgpr 22
		.amdhsa_reserve_vcc 1
		.amdhsa_reserve_flat_scratch 0
		.amdhsa_float_round_mode_32 0
		.amdhsa_float_round_mode_16_64 0
		.amdhsa_float_denorm_mode_32 3
		.amdhsa_float_denorm_mode_16_64 3
		.amdhsa_dx10_clamp 1
		.amdhsa_ieee_mode 1
		.amdhsa_fp16_overflow 0
		.amdhsa_exception_fp_ieee_invalid_op 0
		.amdhsa_exception_fp_denorm_src 0
		.amdhsa_exception_fp_ieee_div_zero 0
		.amdhsa_exception_fp_ieee_overflow 0
		.amdhsa_exception_fp_ieee_underflow 0
		.amdhsa_exception_fp_ieee_inexact 0
		.amdhsa_exception_int_div_zero 0
	.end_amdhsa_kernel
	.text
.Lfunc_end0:
	.size	fft_rtc_back_len1890_factors_2_3_3_3_7_5_wgs_126_tpt_126_halfLds_sp_ip_CI_unitstride_sbrr_dirReg, .Lfunc_end0-fft_rtc_back_len1890_factors_2_3_3_3_7_5_wgs_126_tpt_126_halfLds_sp_ip_CI_unitstride_sbrr_dirReg
                                        ; -- End function
	.section	.AMDGPU.csdata,"",@progbits
; Kernel info:
; codeLenInByte = 10100
; NumSgprs: 26
; NumVgprs: 91
; ScratchSize: 0
; MemoryBound: 0
; FloatMode: 240
; IeeeMode: 1
; LDSByteSize: 0 bytes/workgroup (compile time only)
; SGPRBlocks: 3
; VGPRBlocks: 22
; NumSGPRsForWavesPerEU: 26
; NumVGPRsForWavesPerEU: 91
; Occupancy: 2
; WaveLimiterHint : 1
; COMPUTE_PGM_RSRC2:SCRATCH_EN: 0
; COMPUTE_PGM_RSRC2:USER_SGPR: 6
; COMPUTE_PGM_RSRC2:TRAP_HANDLER: 0
; COMPUTE_PGM_RSRC2:TGID_X_EN: 1
; COMPUTE_PGM_RSRC2:TGID_Y_EN: 0
; COMPUTE_PGM_RSRC2:TGID_Z_EN: 0
; COMPUTE_PGM_RSRC2:TIDIG_COMP_CNT: 0
	.type	__hip_cuid_25e2f8e7c1a49c5d,@object ; @__hip_cuid_25e2f8e7c1a49c5d
	.section	.bss,"aw",@nobits
	.globl	__hip_cuid_25e2f8e7c1a49c5d
__hip_cuid_25e2f8e7c1a49c5d:
	.byte	0                               ; 0x0
	.size	__hip_cuid_25e2f8e7c1a49c5d, 1

	.ident	"AMD clang version 19.0.0git (https://github.com/RadeonOpenCompute/llvm-project roc-6.4.0 25133 c7fe45cf4b819c5991fe208aaa96edf142730f1d)"
	.section	".note.GNU-stack","",@progbits
	.addrsig
	.addrsig_sym __hip_cuid_25e2f8e7c1a49c5d
	.amdgpu_metadata
---
amdhsa.kernels:
  - .args:
      - .actual_access:  read_only
        .address_space:  global
        .offset:         0
        .size:           8
        .value_kind:     global_buffer
      - .offset:         8
        .size:           8
        .value_kind:     by_value
      - .actual_access:  read_only
        .address_space:  global
        .offset:         16
        .size:           8
        .value_kind:     global_buffer
      - .actual_access:  read_only
        .address_space:  global
        .offset:         24
        .size:           8
        .value_kind:     global_buffer
      - .offset:         32
        .size:           8
        .value_kind:     by_value
      - .actual_access:  read_only
        .address_space:  global
        .offset:         40
        .size:           8
        .value_kind:     global_buffer
      - .actual_access:  read_only
        .address_space:  global
        .offset:         48
        .size:           8
        .value_kind:     global_buffer
      - .offset:         56
        .size:           4
        .value_kind:     by_value
      - .actual_access:  read_only
        .address_space:  global
        .offset:         64
        .size:           8
        .value_kind:     global_buffer
      - .actual_access:  read_only
        .address_space:  global
        .offset:         72
        .size:           8
        .value_kind:     global_buffer
      - .address_space:  global
        .offset:         80
        .size:           8
        .value_kind:     global_buffer
    .group_segment_fixed_size: 0
    .kernarg_segment_align: 8
    .kernarg_segment_size: 88
    .language:       OpenCL C
    .language_version:
      - 2
      - 0
    .max_flat_workgroup_size: 126
    .name:           fft_rtc_back_len1890_factors_2_3_3_3_7_5_wgs_126_tpt_126_halfLds_sp_ip_CI_unitstride_sbrr_dirReg
    .private_segment_fixed_size: 0
    .sgpr_count:     26
    .sgpr_spill_count: 0
    .symbol:         fft_rtc_back_len1890_factors_2_3_3_3_7_5_wgs_126_tpt_126_halfLds_sp_ip_CI_unitstride_sbrr_dirReg.kd
    .uniform_work_group_size: 1
    .uses_dynamic_stack: false
    .vgpr_count:     91
    .vgpr_spill_count: 0
    .wavefront_size: 64
amdhsa.target:   amdgcn-amd-amdhsa--gfx906
amdhsa.version:
  - 1
  - 2
...

	.end_amdgpu_metadata
